;; amdgpu-corpus repo=ROCm/rocFFT kind=compiled arch=gfx1030 opt=O3
	.text
	.amdgcn_target "amdgcn-amd-amdhsa--gfx1030"
	.amdhsa_code_object_version 6
	.protected	bluestein_single_fwd_len1008_dim1_sp_op_CI_CI ; -- Begin function bluestein_single_fwd_len1008_dim1_sp_op_CI_CI
	.globl	bluestein_single_fwd_len1008_dim1_sp_op_CI_CI
	.p2align	8
	.type	bluestein_single_fwd_len1008_dim1_sp_op_CI_CI,@function
bluestein_single_fwd_len1008_dim1_sp_op_CI_CI: ; @bluestein_single_fwd_len1008_dim1_sp_op_CI_CI
; %bb.0:
	s_load_dwordx4 s[8:11], s[4:5], 0x28
	v_mul_u32_u24_e32 v1, 0x493, v0
	v_mov_b32_e32 v115, 0
	s_mov_b32 s0, exec_lo
	v_lshrrev_b32_e32 v1, 16, v1
	v_add_nc_u32_e32 v114, s6, v1
	s_waitcnt lgkmcnt(0)
	v_cmpx_gt_u64_e64 s[8:9], v[114:115]
	s_cbranch_execz .LBB0_10
; %bb.1:
	s_clause 0x1
	s_load_dwordx4 s[0:3], s[4:5], 0x18
	s_load_dwordx4 s[12:15], s[4:5], 0x0
	v_mul_lo_u16 v1, v1, 56
                                        ; implicit-def: $vgpr157
	v_sub_nc_u16 v2, v0, v1
	v_and_b32_e32 v162, 0xffff, v2
	v_or_b32_e32 v161, 0x1c0, v162
	v_or_b32_e32 v159, 0x380, v162
	v_lshlrev_b32_e32 v160, 3, v162
	s_waitcnt lgkmcnt(0)
	s_load_dwordx4 s[16:19], s[0:1], 0x0
	s_clause 0x1
	global_load_dwordx2 v[137:138], v160, s[12:13]
	global_load_dwordx2 v[133:134], v160, s[12:13] offset:448
	v_add_co_u32 v43, s0, s12, v160
	v_add_co_ci_u32_e64 v44, null, s13, 0, s0
	v_lshlrev_b32_e32 v163, 3, v159
	v_add_co_u32 v0, vcc_lo, 0x800, v43
	v_add_co_ci_u32_e32 v1, vcc_lo, 0, v44, vcc_lo
	v_add_co_u32 v3, vcc_lo, 0x1000, v43
	v_add_co_ci_u32_e32 v4, vcc_lo, 0, v44, vcc_lo
	v_lshlrev_b32_e32 v165, 3, v161
	s_clause 0x2
	global_load_dwordx2 v[110:111], v163, s[12:13]
	global_load_dwordx2 v[108:109], v165, s[12:13]
	global_load_dwordx2 v[139:140], v[0:1], off offset:1984
	s_waitcnt lgkmcnt(0)
	v_mad_u64_u32 v[5:6], null, s18, v114, 0
	v_mad_u64_u32 v[7:8], null, s16, v162, 0
	;; [unrolled: 1-line block ×4, first 2 shown]
	s_mul_i32 s0, s17, 0xfc0
	s_mul_hi_u32 s1, s16, 0xfc0
	v_mad_u64_u32 v[13:14], null, s19, v114, v[6:7]
	v_mov_b32_e32 v6, v12
	s_mul_i32 s6, s16, 0xfc0
	v_mad_u64_u32 v[14:15], null, s17, v162, v[8:9]
	v_mad_u64_u32 v[15:16], null, s17, v159, v[10:11]
	;; [unrolled: 1-line block ×3, first 2 shown]
	v_mov_b32_e32 v6, v13
	s_add_i32 s1, s1, s0
	v_mov_b32_e32 v8, v14
	s_mul_hi_u32 s8, s16, 0xfffff200
	v_mov_b32_e32 v10, v15
	v_lshlrev_b64 v[5:6], 3, v[5:6]
	v_mov_b32_e32 v12, v16
	v_lshlrev_b64 v[7:8], 3, v[7:8]
	s_mul_i32 s7, s17, 0xfffff200
	s_mul_i32 s9, s16, 0xfffff200
	s_sub_i32 s0, s8, s16
	v_add_co_u32 v15, vcc_lo, s10, v5
	v_add_co_ci_u32_e32 v16, vcc_lo, s11, v6, vcc_lo
	v_lshlrev_b64 v[5:6], 3, v[9:10]
	v_add_co_u32 v7, vcc_lo, v15, v7
	v_add_co_ci_u32_e32 v8, vcc_lo, v16, v8, vcc_lo
	v_lshlrev_b64 v[9:10], 3, v[11:12]
	v_add_co_u32 v11, vcc_lo, v7, s6
	v_add_co_ci_u32_e32 v12, vcc_lo, s1, v8, vcc_lo
	v_add_co_u32 v5, vcc_lo, v15, v5
	v_add_co_ci_u32_e32 v6, vcc_lo, v16, v6, vcc_lo
	s_add_i32 s0, s0, s7
	v_add_co_u32 v13, vcc_lo, v11, s9
	v_add_co_ci_u32_e32 v14, vcc_lo, s0, v12, vcc_lo
	v_add_co_u32 v9, vcc_lo, v15, v9
	v_add_co_ci_u32_e32 v10, vcc_lo, v16, v10, vcc_lo
	;; [unrolled: 2-line block ×3, first 2 shown]
	s_clause 0x1
	global_load_dwordx2 v[17:18], v[5:6], off
	global_load_dwordx2 v[19:20], v[9:10], off
	v_add_co_u32 v5, vcc_lo, v15, s9
	v_add_co_ci_u32_e32 v6, vcc_lo, s0, v16, vcc_lo
	s_clause 0x1
	global_load_dwordx2 v[21:22], v[7:8], off
	global_load_dwordx2 v[23:24], v[11:12], off
	v_add_co_u32 v9, vcc_lo, v5, s6
	v_add_co_ci_u32_e32 v10, vcc_lo, s1, v6, vcc_lo
	;; [unrolled: 5-line block ×3, first 2 shown]
	global_load_dwordx2 v[27:28], v[5:6], off
	v_add_co_u32 v25, vcc_lo, v7, s6
	v_add_co_ci_u32_e32 v26, vcc_lo, s1, v8, vcc_lo
	global_load_dwordx2 v[29:30], v[9:10], off
	v_add_co_u32 v5, vcc_lo, v25, s9
	v_add_co_ci_u32_e32 v6, vcc_lo, s0, v26, vcc_lo
	s_clause 0x1
	global_load_dwordx2 v[141:142], v[3:4], off offset:384
	global_load_dwordx2 v[135:136], v[3:4], off offset:832
	v_add_co_u32 v9, vcc_lo, v5, s6
	v_add_co_ci_u32_e32 v10, vcc_lo, s1, v6, vcc_lo
	global_load_dwordx2 v[33:34], v[7:8], off
	v_add_co_u32 v31, vcc_lo, v9, s9
	v_add_co_ci_u32_e32 v32, vcc_lo, s0, v10, vcc_lo
	s_clause 0x1
	global_load_dwordx2 v[143:144], v160, s[12:13] offset:896
	global_load_dwordx2 v[131:132], v160, s[12:13] offset:1344
	v_add_co_u32 v7, vcc_lo, v31, s6
	v_add_co_ci_u32_e32 v8, vcc_lo, s1, v32, vcc_lo
	global_load_dwordx2 v[39:40], v[5:6], off
	v_add_co_u32 v35, vcc_lo, v7, s9
	v_add_co_ci_u32_e32 v36, vcc_lo, s0, v8, vcc_lo
	global_load_dwordx2 v[25:26], v[25:26], off
	v_add_co_u32 v37, vcc_lo, v35, s6
	v_add_co_ci_u32_e32 v38, vcc_lo, s1, v36, vcc_lo
	s_clause 0x1
	global_load_dwordx2 v[129:130], v[3:4], off offset:1280
	global_load_dwordx2 v[127:128], v160, s[12:13] offset:1792
	global_load_dwordx2 v[41:42], v[9:10], off
	global_load_dwordx2 v[125:126], v[3:4], off offset:1728
	v_add_co_u32 v5, vcc_lo, v37, s9
	v_add_co_ci_u32_e32 v6, vcc_lo, s0, v38, vcc_lo
	v_add_co_u32 v9, vcc_lo, 0x1800, v43
	v_add_co_ci_u32_e32 v10, vcc_lo, 0, v44, vcc_lo
	v_mad_u64_u32 v[3:4], null, 0x1180, s16, v[5:6]
	global_load_dwordx2 v[31:32], v[31:32], off
	global_load_dwordx2 v[123:124], v[0:1], off offset:192
	global_load_dwordx2 v[43:44], v[7:8], off
	global_load_dwordx2 v[119:120], v[9:10], off offset:128
	global_load_dwordx2 v[35:36], v[35:36], off
	s_clause 0x1
	global_load_dwordx2 v[121:122], v[0:1], off offset:640
	global_load_dwordx2 v[117:118], v[9:10], off offset:576
	global_load_dwordx2 v[37:38], v[37:38], off
	v_and_b32_e32 v66, 1, v162
	v_add_co_u32 v11, null, 0x118, v162
	v_mad_u64_u32 v[7:8], null, 0x1180, s17, v[4:5]
	v_add_co_u32 v8, null, v162, 56
	v_lshlrev_b32_e32 v164, 4, v162
	v_lshlrev_b32_e32 v67, 3, v66
	;; [unrolled: 1-line block ×4, first 2 shown]
	v_mov_b32_e32 v4, v7
	global_load_dwordx2 v[115:116], v[0:1], off offset:1088
	global_load_dwordx2 v[45:46], v[5:6], off
	global_load_dwordx2 v[112:113], v[9:10], off offset:1472
	global_load_dwordx2 v[47:48], v[3:4], off
	s_load_dwordx4 s[8:11], s[2:3], 0x0
	v_add_nc_u32_e32 v4, 0x1000, v160
	v_add_nc_u32_e32 v7, 0x400, v160
	;; [unrolled: 1-line block ×4, first 2 shown]
	v_add_co_u32 v3, null, 0x70, v162
	v_add_co_u32 v9, null, 0xa8, v162
	;; [unrolled: 1-line block ×3, first 2 shown]
	v_lshlrev_b32_e32 v0, 1, v162
	v_lshlrev_b32_e32 v186, 4, v3
	;; [unrolled: 1-line block ×5, first 2 shown]
	v_add_nc_u32_e32 v213, 0x2a0, v0
	v_add_nc_u32_e32 v214, 0x310, v0
	v_cmp_gt_u16_e32 vcc_lo, 48, v2
	s_load_dwordx2 s[2:3], s[4:5], 0x38
	s_waitcnt vmcnt(30)
	v_mul_f32_e32 v16, v18, v111
	v_mul_f32_e32 v52, v17, v111
	s_waitcnt vmcnt(29)
	v_mul_f32_e32 v51, v20, v109
	v_mul_f32_e32 v53, v19, v109
	;; [unrolled: 3-line block ×3, first 2 shown]
	v_fmac_f32_e32 v16, v17, v110
	v_fma_f32 v17, v18, v110, -v52
	v_fmac_f32_e32 v51, v19, v108
	v_fma_f32 v50, v22, v137, -v1
	s_waitcnt vmcnt(27)
	v_mul_f32_e32 v1, v23, v140
	v_fmac_f32_e32 v49, v21, v137
	v_mul_f32_e32 v21, v24, v140
	s_waitcnt vmcnt(26)
	v_mul_f32_e32 v18, v13, v134
	v_mul_f32_e32 v52, v12, v134
	v_fma_f32 v22, v24, v139, -v1
	v_fmac_f32_e32 v21, v23, v139
	v_fmac_f32_e32 v18, v12, v133
	v_fma_f32 v19, v13, v133, -v52
	ds_write_b64 v160, v[21:22] offset:4032
	ds_write2_b64 v160, v[49:50], v[18:19] offset1:56
	s_waitcnt vmcnt(22)
	v_mul_f32_e32 v1, v14, v142
	v_mul_f32_e32 v12, v15, v142
	v_fma_f32 v52, v20, v108, -v53
	v_fma_f32 v13, v15, v141, -v1
	v_fmac_f32_e32 v12, v14, v141
	s_waitcnt vmcnt(21)
	v_mul_f32_e32 v14, v30, v136
	v_mul_f32_e32 v15, v29, v136
	ds_write_b64 v160, v[51:52] offset:3584
	s_waitcnt vmcnt(19)
	v_mul_f32_e32 v1, v27, v144
	v_mul_f32_e32 v18, v28, v144
	s_waitcnt vmcnt(18)
	v_mul_f32_e32 v20, v34, v132
	v_mul_f32_e32 v21, v33, v132
	v_fmac_f32_e32 v14, v29, v135
	v_fma_f32 v19, v28, v143, -v1
	v_fma_f32 v15, v30, v135, -v15
	v_fmac_f32_e32 v18, v27, v143
	v_fmac_f32_e32 v20, v33, v131
	v_fma_f32 v21, v34, v131, -v21
	ds_write2_b64 v4, v[12:13], v[14:15] offset0:48 offset1:104
	s_waitcnt vmcnt(15)
	v_mul_f32_e32 v1, v25, v130
	ds_write2_b64 v160, v[18:19], v[20:21] offset0:112 offset1:168
	v_mul_f32_e32 v22, v26, v130
	s_waitcnt vmcnt(12)
	v_mul_f32_e32 v14, v42, v126
	v_mul_f32_e32 v15, v41, v126
	v_fma_f32 v23, v26, v129, -v1
	v_mul_f32_e32 v1, v39, v128
	v_mul_f32_e32 v12, v40, v128
	v_fmac_f32_e32 v22, v25, v129
	v_fmac_f32_e32 v14, v41, v125
	v_fma_f32 v15, v42, v125, -v15
	v_fma_f32 v13, v40, v127, -v1
	v_fmac_f32_e32 v12, v39, v127
	s_waitcnt vmcnt(10)
	v_mul_f32_e32 v1, v31, v124
	v_mul_f32_e32 v18, v32, v124
	s_waitcnt vmcnt(8)
	v_mul_f32_e32 v20, v44, v120
	s_waitcnt vmcnt(4)
	v_mul_f32_e32 v26, v38, v118
	v_mul_f32_e32 v24, v36, v122
	v_fma_f32 v19, v32, v123, -v1
	v_mul_f32_e32 v1, v43, v120
	v_mul_f32_e32 v25, v35, v122
	v_fmac_f32_e32 v18, v31, v123
	v_fmac_f32_e32 v20, v43, v119
	;; [unrolled: 1-line block ×3, first 2 shown]
	v_fma_f32 v21, v44, v119, -v1
	v_mul_f32_e32 v1, v37, v118
	v_fmac_f32_e32 v24, v35, v121
	s_waitcnt vmcnt(2)
	v_mul_f32_e32 v28, v46, v116
	v_mul_f32_e32 v29, v45, v116
	s_waitcnt vmcnt(0)
	v_mul_f32_e32 v30, v48, v113
	v_mul_f32_e32 v31, v47, v113
	v_fma_f32 v27, v38, v117, -v1
	v_fma_f32 v25, v36, v121, -v25
	v_fmac_f32_e32 v28, v45, v115
	v_fma_f32 v29, v46, v115, -v29
	v_fmac_f32_e32 v30, v47, v112
	v_fma_f32 v31, v48, v112, -v31
	ds_write2_b64 v4, v[22:23], v[14:15] offset0:160 offset1:216
	ds_write2_b64 v7, v[12:13], v[18:19] offset0:96 offset1:152
	;; [unrolled: 1-line block ×5, first 2 shown]
	s_waitcnt lgkmcnt(0)
	s_barrier
	buffer_gl0_inv
	ds_read2_b64 v[12:15], v160 offset1:56
	ds_read2_b64 v[16:19], v4 offset0:48 offset1:104
	ds_read2_b64 v[20:23], v160 offset0:112 offset1:168
	;; [unrolled: 1-line block ×8, first 2 shown]
	v_lshlrev_b32_e32 v1, 3, v0
	s_waitcnt lgkmcnt(0)
	s_barrier
	buffer_gl0_inv
	v_sub_f32_e32 v16, v14, v16
	v_sub_f32_e32 v17, v15, v17
	;; [unrolled: 1-line block ×18, first 2 shown]
	v_fma_f32 v58, v12, 2.0, -v60
	v_fma_f32 v59, v13, 2.0, -v61
	;; [unrolled: 1-line block ×18, first 2 shown]
	ds_write_b128 v164, v[58:61]
	ds_write_b128 v188, v[14:17]
	;; [unrolled: 1-line block ×6, first 2 shown]
	ds_write_b128 v1, v[54:57] offset:5376
	ds_write_b128 v1, v[38:41] offset:6272
	ds_write_b128 v169, v[62:65]
	s_waitcnt lgkmcnt(0)
	s_barrier
	buffer_gl0_inv
	global_load_dwordx2 v[145:146], v67, s[14:15]
	v_lshlrev_b32_e32 v1, 1, v8
	v_lshlrev_b32_e32 v12, 1, v3
	;; [unrolled: 1-line block ×5, first 2 shown]
	v_and_or_b32 v17, 0x7c, v0, v66
	v_lshlrev_b32_e32 v16, 1, v161
	v_and_or_b32 v25, 0xfc, v1, v66
	v_and_or_b32 v26, 0x1fc, v12, v66
	;; [unrolled: 1-line block ×6, first 2 shown]
	v_lshlrev_b32_e32 v166, 3, v17
	ds_read2_b64 v[17:20], v6 offset0:192 offset1:248
	ds_read2_b64 v[21:24], v4 offset0:48 offset1:104
	v_and_or_b32 v33, 0x3fc, v214, v66
	v_and_or_b32 v34, 0x3fc, v16, v66
	v_lshlrev_b32_e32 v190, 3, v25
	v_lshlrev_b32_e32 v189, 3, v26
	;; [unrolled: 1-line block ×3, first 2 shown]
	ds_read2_b64 v[25:28], v4 offset0:160 offset1:216
	v_lshlrev_b32_e32 v181, 3, v29
	v_lshlrev_b32_e32 v178, 3, v30
	;; [unrolled: 1-line block ×3, first 2 shown]
	ds_read2_b64 v[29:32], v5 offset0:16 offset1:72
	v_lshlrev_b32_e32 v172, 3, v33
	v_lshlrev_b32_e32 v170, 3, v34
	ds_read2_b64 v[33:36], v160 offset1:56
	ds_read2_b64 v[37:40], v160 offset0:112 offset1:168
	ds_read2_b64 v[41:44], v5 offset0:128 offset1:184
	;; [unrolled: 1-line block ×4, first 2 shown]
	v_and_b32_e32 v53, 3, v162
	s_waitcnt vmcnt(0) lgkmcnt(0)
	s_barrier
	buffer_gl0_inv
	v_lshlrev_b32_e32 v54, 3, v53
	v_mul_f32_e32 v55, v20, v146
	v_mul_f32_e32 v68, v19, v146
	;; [unrolled: 1-line block ×18, first 2 shown]
	v_fma_f32 v19, v19, v145, -v55
	v_fmac_f32_e32 v68, v20, v145
	v_fma_f32 v21, v21, v145, -v56
	v_fmac_f32_e32 v57, v22, v145
	;; [unrolled: 2-line block ×9, first 2 shown]
	v_sub_f32_e32 v19, v33, v19
	v_sub_f32_e32 v20, v34, v68
	;; [unrolled: 1-line block ×18, first 2 shown]
	v_fma_f32 v33, v33, 2.0, -v19
	v_fma_f32 v34, v34, 2.0, -v20
	;; [unrolled: 1-line block ×18, first 2 shown]
	ds_write2_b64 v166, v[33:34], v[19:20] offset1:2
	ds_write2_b64 v190, v[35:36], v[21:22] offset1:2
	;; [unrolled: 1-line block ×9, first 2 shown]
	s_waitcnt lgkmcnt(0)
	s_barrier
	buffer_gl0_inv
	global_load_dwordx2 v[151:152], v54, s[14:15] offset:16
	v_and_or_b32 v17, 0x78, v0, v53
	v_and_or_b32 v21, 0xf8, v1, v53
	;; [unrolled: 1-line block ×5, first 2 shown]
	v_lshlrev_b32_e32 v184, 3, v17
	v_and_or_b32 v29, 0x2f8, v15, v53
	v_and_or_b32 v30, 0x3f8, v213, v53
	;; [unrolled: 1-line block ×3, first 2 shown]
	ds_read2_b64 v[17:20], v6 offset0:192 offset1:248
	v_lshlrev_b32_e32 v187, 3, v21
	ds_read2_b64 v[21:24], v4 offset0:48 offset1:104
	v_and_or_b32 v33, 0x3f8, v16, v53
	v_lshlrev_b32_e32 v182, 3, v25
	v_lshlrev_b32_e32 v179, 3, v26
	;; [unrolled: 1-line block ×3, first 2 shown]
	ds_read2_b64 v[25:28], v4 offset0:160 offset1:216
	v_lshlrev_b32_e32 v173, 3, v29
	v_lshlrev_b32_e32 v171, 3, v30
	v_lshlrev_b32_e32 v168, 3, v31
	ds_read2_b64 v[29:32], v5 offset0:16 offset1:72
	v_lshlrev_b32_e32 v167, 3, v33
	ds_read2_b64 v[33:36], v160 offset1:56
	ds_read2_b64 v[37:40], v160 offset0:112 offset1:168
	ds_read2_b64 v[41:44], v5 offset0:128 offset1:184
	;; [unrolled: 1-line block ×4, first 2 shown]
	v_and_b32_e32 v54, 7, v162
	s_waitcnt vmcnt(0) lgkmcnt(0)
	s_barrier
	buffer_gl0_inv
	v_lshlrev_b32_e32 v55, 3, v54
	v_and_or_b32 v0, 0x70, v0, v54
	v_lshlrev_b32_e32 v201, 3, v0
	v_and_or_b32 v0, 0xf0, v1, v54
	v_and_or_b32 v1, 0x1f0, v12, v54
	v_lshlrev_b32_e32 v203, 3, v0
	v_lshlrev_b32_e32 v200, 3, v1
	v_mul_f32_e32 v53, v20, v152
	v_mul_f32_e32 v56, v19, v152
	v_mul_f32_e32 v57, v22, v152
	v_mul_f32_e32 v58, v21, v152
	v_mul_f32_e32 v59, v24, v152
	v_mul_f32_e32 v60, v23, v152
	v_mul_f32_e32 v61, v26, v152
	v_mul_f32_e32 v62, v25, v152
	v_mul_f32_e32 v63, v28, v152
	v_mul_f32_e32 v64, v27, v152
	v_mul_f32_e32 v65, v30, v152
	v_mul_f32_e32 v66, v29, v152
	v_mul_f32_e32 v67, v32, v152
	v_mul_f32_e32 v68, v31, v152
	v_mul_f32_e32 v69, v42, v152
	v_mul_f32_e32 v70, v41, v152
	v_mul_f32_e32 v71, v44, v152
	v_mul_f32_e32 v72, v43, v152
	v_fma_f32 v19, v19, v151, -v53
	v_fmac_f32_e32 v56, v20, v151
	v_fma_f32 v21, v21, v151, -v57
	v_fmac_f32_e32 v58, v22, v151
	;; [unrolled: 2-line block ×9, first 2 shown]
	v_sub_f32_e32 v19, v33, v19
	v_sub_f32_e32 v20, v34, v56
	;; [unrolled: 1-line block ×18, first 2 shown]
	v_fma_f32 v33, v33, 2.0, -v19
	v_fma_f32 v34, v34, 2.0, -v20
	;; [unrolled: 1-line block ×18, first 2 shown]
	ds_write2_b64 v184, v[33:34], v[19:20] offset1:4
	ds_write2_b64 v187, v[35:36], v[21:22] offset1:4
	;; [unrolled: 1-line block ×9, first 2 shown]
	s_waitcnt lgkmcnt(0)
	s_barrier
	buffer_gl0_inv
	global_load_dwordx2 v[147:148], v55, s[14:15] offset:48
	v_and_or_b32 v17, 0x1f0, v13, v54
	v_and_or_b32 v23, 0x3f0, v14, v54
	;; [unrolled: 1-line block ×6, first 2 shown]
	ds_read2_b64 v[12:15], v4 offset0:48 offset1:104
	v_lshlrev_b32_e32 v198, 3, v17
	ds_read2_b64 v[16:19], v4 offset0:160 offset1:216
	v_lshlrev_b32_e32 v196, 3, v23
	v_lshlrev_b32_e32 v195, 3, v24
	;; [unrolled: 1-line block ×3, first 2 shown]
	ds_read2_b64 v[23:26], v5 offset0:16 offset1:72
	v_lshlrev_b32_e32 v193, 3, v28
	v_lshlrev_b32_e32 v192, 3, v27
	ds_read2_b64 v[27:30], v160 offset1:56
	ds_read2_b64 v[31:34], v5 offset0:128 offset1:184
	ds_read2_b64 v[35:38], v6 offset0:192 offset1:248
	;; [unrolled: 1-line block ×5, first 2 shown]
	v_and_b32_e32 v20, 15, v162
	v_and_b32_e32 v21, 15, v11
	;; [unrolled: 1-line block ×3, first 2 shown]
	s_waitcnt vmcnt(0) lgkmcnt(0)
	s_barrier
	v_lshlrev_b32_e32 v51, 4, v20
	v_lshlrev_b32_e32 v52, 4, v21
	buffer_gl0_inv
	v_mul_f32_e32 v0, v13, v148
	v_mul_f32_e32 v67, v38, v148
	;; [unrolled: 1-line block ×18, first 2 shown]
	v_fma_f32 v12, v12, v147, -v0
	v_fma_f32 v0, v37, v147, -v67
	v_fmac_f32_e32 v68, v38, v147
	v_fmac_f32_e32 v53, v13, v147
	v_fma_f32 v14, v14, v147, -v1
	v_fmac_f32_e32 v54, v15, v147
	v_fma_f32 v16, v16, v147, -v55
	;; [unrolled: 2-line block ×7, first 2 shown]
	v_fmac_f32_e32 v66, v34, v147
	v_sub_f32_e32 v0, v27, v0
	v_sub_f32_e32 v1, v28, v68
	;; [unrolled: 1-line block ×18, first 2 shown]
	v_fma_f32 v27, v27, 2.0, -v0
	v_fma_f32 v28, v28, 2.0, -v1
	;; [unrolled: 1-line block ×18, first 2 shown]
	ds_write2_b64 v201, v[27:28], v[0:1] offset1:8
	ds_write2_b64 v203, v[29:30], v[12:13] offset1:8
	;; [unrolled: 1-line block ×9, first 2 shown]
	v_and_b32_e32 v25, 15, v8
	v_lshlrev_b32_e32 v0, 4, v22
	s_waitcnt lgkmcnt(0)
	s_barrier
	buffer_gl0_inv
	s_clause 0x3
	global_load_dwordx4 v[12:15], v51, s[14:15] offset:112
	global_load_dwordx2 v[149:150], v52, s[14:15] offset:112
	global_load_dwordx2 v[155:156], v52, s[14:15] offset:120
	global_load_dwordx4 v[16:19], v0, s[14:15] offset:112
	v_lshlrev_b32_e32 v0, 4, v25
	s_clause 0x1
	global_load_dword v191, v52, s[14:15] offset:124
	global_load_dwordx2 v[153:154], v52, s[14:15] offset:116
	v_mov_b32_e32 v23, 0xaaab
	v_lshrrev_b32_e32 v28, 4, v3
	v_lshrrev_b32_e32 v30, 4, v10
	global_load_dword v175, v0, s[14:15] offset:112
	v_lshrrev_b32_e32 v0, 4, v162
	v_and_b32_e32 v32, 0xff, v8
	v_add_co_u32 v24, s0, 0xffffffd0, v162
	v_add_co_ci_u32_e64 v1, null, 0, -1, s0
	v_mul_u32_u24_e32 v26, 48, v0
	v_lshrrev_b32_e32 v27, 4, v8
	v_lshrrev_b32_e32 v29, 4, v9
	;; [unrolled: 1-line block ×3, first 2 shown]
	v_and_b32_e32 v33, 0xff, v9
	v_and_b32_e32 v34, 0xff, v3
	v_mul_u32_u24_sdwa v35, v10, v23 dst_sel:DWORD dst_unused:UNUSED_PAD src0_sel:WORD_0 src1_sel:DWORD
	v_or_b32_e32 v26, v26, v20
	v_mul_u32_u24_e32 v28, 48, v28
	v_mul_u32_u24_e32 v30, 48, v30
	v_mul_lo_u16 v32, 0xab, v32
	v_cndmask_b32_e64 v1, v1, 0, vcc_lo
	v_cndmask_b32_e32 v0, v24, v162, vcc_lo
	v_mul_u32_u24_sdwa v37, v11, v23 dst_sel:DWORD dst_unused:UNUSED_PAD src0_sel:WORD_0 src1_sel:DWORD
	v_mul_u32_u24_e32 v27, 48, v27
	v_mul_u32_u24_e32 v29, 48, v29
	;; [unrolled: 1-line block ×3, first 2 shown]
	v_mul_lo_u16 v33, 0xab, v33
	v_mul_lo_u16 v34, 0xab, v34
	v_lshrrev_b32_e32 v36, 21, v35
	v_lshlrev_b32_e32 v212, 3, v26
	v_or_b32_e32 v26, v28, v20
	v_or_b32_e32 v20, v30, v20
	v_lshrrev_b16 v39, 13, v32
	v_lshlrev_b64 v[23:24], 4, v[0:1]
	v_lshrrev_b32_e32 v1, 21, v37
	v_or_b32_e32 v25, v27, v25
	v_or_b32_e32 v22, v29, v22
	;; [unrolled: 1-line block ×3, first 2 shown]
	v_lshrrev_b16 v37, 13, v33
	v_lshrrev_b16 v38, 13, v34
	v_mul_lo_u16 v27, v36, 48
	v_lshlrev_b32_e32 v208, 3, v20
	v_mul_lo_u16 v20, v39, 48
	v_mul_lo_u16 v28, v1, 48
	v_lshlrev_b32_e32 v209, 3, v22
	v_lshlrev_b32_e32 v207, 3, v21
	v_mul_lo_u16 v21, v37, 48
	v_mul_lo_u16 v22, v38, 48
	v_sub_nc_u16 v58, v10, v27
	v_sub_nc_u16 v20, v8, v20
	v_add_co_u32 v56, vcc_lo, s14, v23
	v_sub_nc_u16 v59, v11, v28
	v_add_co_ci_u32_e32 v57, vcc_lo, s15, v24, vcc_lo
	v_lshlrev_b32_e32 v211, 3, v25
	v_lshlrev_b32_e32 v210, 3, v26
	v_sub_nc_u16 v24, v9, v21
	v_sub_nc_u16 v25, v3, v22
	v_lshlrev_b16 v26, 4, v58
	ds_read2_b64 v[8:11], v6 offset0:80 offset1:136
	v_and_b32_e32 v60, 0xff, v20
	ds_read2_b64 v[20:23], v4 offset0:160 offset1:216
	v_lshlrev_b16 v28, 4, v59
	v_and_b32_e32 v61, 0xff, v25
	v_and_b32_e32 v62, 0xff, v24
	;; [unrolled: 1-line block ×3, first 2 shown]
	ds_read2_b64 v[24:27], v6 offset0:192 offset1:248
	v_and_b32_e32 v64, 0xffff, v28
	ds_read2_b64 v[28:31], v5 offset0:16 offset1:72
	ds_read2_b64 v[32:35], v4 offset0:48 offset1:104
	;; [unrolled: 1-line block ×3, first 2 shown]
	ds_read2_b64 v[44:47], v160 offset1:56
	ds_read2_b64 v[48:51], v160 offset0:112 offset1:168
	ds_read2_b64 v[52:55], v7 offset0:96 offset1:152
	v_lshlrev_b32_e32 v65, 4, v60
	s_waitcnt vmcnt(0) lgkmcnt(0)
	s_barrier
	buffer_gl0_inv
	v_cmp_lt_u16_e32 vcc_lo, 47, v2
	v_mad_u16 v1, 0x90, v1, v59
	v_mul_f32_e32 v66, v9, v13
	v_mul_f32_e32 v67, v8, v13
	;; [unrolled: 1-line block ×24, first 2 shown]
	v_fma_f32 v8, v8, v12, -v66
	v_fmac_f32_e32 v67, v9, v12
	v_fma_f32 v9, v10, v175, -v68
	v_fma_f32 v10, v20, v14, -v70
	v_fmac_f32_e32 v71, v21, v14
	v_fmac_f32_e32 v69, v11, v175
	v_fma_f32 v20, v22, v154, -v72
	v_fmac_f32_e32 v73, v23, v154
	v_fma_f32 v11, v24, v12, -v74
	;; [unrolled: 2-line block ×9, first 2 shown]
	v_fmac_f32_e32 v89, v43, v155
	v_add_f32_e32 v27, v67, v71
	v_add_f32_e32 v29, v44, v8
	;; [unrolled: 1-line block ×8, first 2 shown]
	v_sub_f32_e32 v40, v67, v71
	v_sub_f32_e32 v41, v8, v10
	v_add_f32_e32 v31, v47, v69
	v_sub_f32_e32 v42, v69, v73
	v_add_f32_e32 v34, v46, v9
	v_add_f32_e32 v69, v48, v11
	v_sub_f32_e32 v72, v11, v22
	v_add_f32_e32 v76, v77, v81
	v_add_f32_e32 v78, v21, v26
	v_add_f32_e32 v82, v53, v83
	v_sub_f32_e32 v84, v83, v87
	v_add_f32_e32 v83, v83, v87
	;; [unrolled: 4-line block ×3, first 2 shown]
	v_add_f32_e32 v94, v24, v32
	v_add_f32_e32 v8, v29, v10
	v_fma_f32 v10, -0.5, v30, v44
	v_fma_f32 v11, -0.5, v27, v45
	v_sub_f32_e32 v43, v9, v20
	v_fma_f32 v46, -0.5, v35, v46
	v_fmac_f32_e32 v47, -0.5, v33
	v_add_f32_e32 v66, v49, v75
	v_sub_f32_e32 v67, v75, v79
	v_add_f32_e32 v93, v54, v24
	v_sub_f32_e32 v95, v24, v32
	v_add_f32_e32 v9, v25, v71
	v_fma_f32 v24, -0.5, v70, v48
	v_fma_f32 v25, -0.5, v68, v49
	v_add_f32_e32 v74, v51, v77
	v_sub_f32_e32 v75, v77, v81
	v_add_f32_e32 v77, v50, v21
	v_sub_f32_e32 v80, v21, v26
	v_add_f32_e32 v86, v52, v23
	v_sub_f32_e32 v90, v23, v28
	v_add_f32_e32 v21, v31, v73
	v_add_f32_e32 v20, v34, v20
	v_fma_f32 v50, -0.5, v78, v50
	v_fmac_f32_e32 v51, -0.5, v76
	v_fma_f32 v30, -0.5, v88, v52
	v_fma_f32 v31, -0.5, v83, v53
	;; [unrolled: 1-line block ×3, first 2 shown]
	v_fmac_f32_e32 v55, -0.5, v85
	v_fmamk_f32 v34, v40, 0x3f5db3d7, v10
	v_fmamk_f32 v35, v41, 0xbf5db3d7, v11
	v_fmac_f32_e32 v10, 0xbf5db3d7, v40
	v_fmac_f32_e32 v11, 0x3f5db3d7, v41
	v_fmamk_f32 v40, v42, 0x3f5db3d7, v46
	v_fmamk_f32 v41, v43, 0xbf5db3d7, v47
	v_fmac_f32_e32 v46, 0xbf5db3d7, v42
	v_fmac_f32_e32 v47, 0x3f5db3d7, v43
	v_add_f32_e32 v23, v66, v79
	v_add_f32_e32 v22, v69, v22
	v_fmamk_f32 v42, v67, 0x3f5db3d7, v24
	v_fmamk_f32 v43, v72, 0xbf5db3d7, v25
	v_add_f32_e32 v27, v74, v81
	v_add_f32_e32 v26, v77, v26
	;; [unrolled: 1-line block ×6, first 2 shown]
	v_fmac_f32_e32 v24, 0xbf5db3d7, v67
	v_fmac_f32_e32 v25, 0x3f5db3d7, v72
	v_fmamk_f32 v44, v75, 0x3f5db3d7, v50
	v_fmamk_f32 v45, v80, 0xbf5db3d7, v51
	v_fmac_f32_e32 v50, 0xbf5db3d7, v75
	v_fmac_f32_e32 v51, 0x3f5db3d7, v80
	v_fmamk_f32 v48, v84, 0x3f5db3d7, v30
	v_fmamk_f32 v49, v90, 0xbf5db3d7, v31
	;; [unrolled: 4-line block ×3, first 2 shown]
	v_fmac_f32_e32 v54, 0xbf5db3d7, v92
	v_fmac_f32_e32 v55, 0x3f5db3d7, v95
	ds_write2_b64 v212, v[8:9], v[34:35] offset1:16
	ds_write_b64 v212, v[10:11] offset:256
	ds_write2_b64 v211, v[20:21], v[40:41] offset1:16
	ds_write_b64 v211, v[46:47] offset:256
	;; [unrolled: 2-line block ×6, first 2 shown]
	v_lshlrev_b32_e32 v10, 4, v61
	v_lshlrev_b32_e32 v11, 4, v62
	v_add_co_u32 v8, s0, s14, v63
	s_waitcnt lgkmcnt(0)
	s_barrier
	buffer_gl0_inv
	s_clause 0x1
	global_load_dwordx4 v[44:47], v[56:57], off offset:368
	global_load_dwordx4 v[40:43], v65, s[14:15] offset:368
	v_add_co_ci_u32_e64 v9, null, s15, 0, s0
	s_clause 0x1
	global_load_dwordx4 v[32:35], v10, s[14:15] offset:368
	global_load_dwordx4 v[28:31], v11, s[14:15] offset:368
	v_add_co_u32 v10, s0, s14, v64
	v_add_co_ci_u32_e64 v11, null, s15, 0, s0
	s_clause 0x1
	global_load_dwordx4 v[24:27], v[8:9], off offset:368
	global_load_dwordx4 v[20:23], v[10:11], off offset:368
	v_cndmask_b32_e64 v9, 0, 0x90, vcc_lo
	v_mov_b32_e32 v10, 0x90
	ds_read2_b64 v[48:51], v6 offset0:80 offset1:136
	ds_read2_b64 v[52:55], v6 offset0:192 offset1:248
	v_mov_b32_e32 v11, 3
	v_add_lshl_u32 v205, v0, v9, 3
	v_mul_u32_u24_sdwa v0, v39, v10 dst_sel:DWORD dst_unused:UNUSED_PAD src0_sel:WORD_0 src1_sel:DWORD
	v_mad_u16 v9, 0x90, v36, v58
	v_mul_u32_u24_sdwa v56, v38, v10 dst_sel:DWORD dst_unused:UNUSED_PAD src0_sel:WORD_0 src1_sel:DWORD
	v_mul_u32_u24_sdwa v10, v37, v10 dst_sel:DWORD dst_unused:UNUSED_PAD src0_sel:WORD_0 src1_sel:DWORD
	ds_read2_b64 v[36:39], v4 offset0:160 offset1:216
	v_add_lshl_u32 v206, v0, v60, 3
	v_lshlrev_b32_sdwa v199, v11, v9 dst_sel:DWORD dst_unused:UNUSED_PAD src0_sel:DWORD src1_sel:WORD_0
	v_add_lshl_u32 v204, v56, v61, 3
	v_add_lshl_u32 v202, v10, v62, 3
	ds_read2_b64 v[56:59], v5 offset0:16 offset1:72
	ds_read2_b64 v[60:63], v4 offset0:48 offset1:104
	;; [unrolled: 1-line block ×3, first 2 shown]
	ds_read2_b64 v[70:73], v160 offset1:56
	ds_read2_b64 v[76:79], v7 offset0:96 offset1:152
	ds_read2_b64 v[80:83], v160 offset0:112 offset1:168
	v_lshlrev_b32_sdwa v197, v11, v1 dst_sel:DWORD dst_unused:UNUSED_PAD src0_sel:DWORD src1_sel:WORD_0
	v_add_nc_u32_e32 v8, 0x1400, v160
	s_waitcnt vmcnt(0) lgkmcnt(0)
	s_barrier
	buffer_gl0_inv
	v_cmp_gt_u16_e32 vcc_lo, 32, v2
	v_mul_f32_e32 v0, v49, v45
	v_mul_f32_e32 v1, v48, v45
	;; [unrolled: 1-line block ×24, first 2 shown]
	v_fma_f32 v0, v48, v44, -v0
	v_fmac_f32_e32 v1, v49, v44
	v_fma_f32 v10, v36, v46, -v10
	v_fmac_f32_e32 v11, v37, v46
	v_fma_f32 v7, v50, v40, -v7
	v_fmac_f32_e32 v9, v51, v40
	v_fma_f32 v36, v38, v42, -v68
	v_fmac_f32_e32 v69, v39, v42
	v_fma_f32 v37, v52, v32, -v74
	v_fmac_f32_e32 v75, v53, v32
	v_fma_f32 v48, v56, v34, -v86
	v_fmac_f32_e32 v87, v57, v34
	v_fma_f32 v38, v54, v28, -v84
	v_fmac_f32_e32 v85, v55, v28
	v_fma_f32 v50, v58, v30, -v88
	v_fmac_f32_e32 v89, v59, v30
	v_fma_f32 v39, v60, v24, -v90
	v_fmac_f32_e32 v91, v61, v24
	v_fma_f32 v49, v62, v20, -v92
	v_fmac_f32_e32 v93, v63, v20
	v_fma_f32 v52, v64, v26, -v94
	v_fmac_f32_e32 v95, v65, v26
	v_fma_f32 v54, v66, v22, -v96
	v_fmac_f32_e32 v97, v67, v22
	v_add_f32_e32 v53, v1, v11
	v_add_f32_e32 v55, v70, v0
	;; [unrolled: 1-line block ×9, first 2 shown]
	v_sub_f32_e32 v56, v1, v11
	v_sub_f32_e32 v58, v0, v10
	v_add_f32_e32 v59, v73, v9
	v_sub_f32_e32 v60, v9, v69
	v_add_f32_e32 v64, v81, v75
	;; [unrolled: 2-line block ×4, first 2 shown]
	v_add_f32_e32 v88, v38, v50
	v_add_f32_e32 v92, v77, v91
	v_sub_f32_e32 v94, v91, v95
	v_add_f32_e32 v91, v91, v95
	v_add_f32_e32 v98, v39, v52
	;; [unrolled: 1-line block ×3, first 2 shown]
	v_sub_f32_e32 v101, v93, v97
	v_add_f32_e32 v93, v93, v97
	v_add_f32_e32 v102, v78, v49
	v_add_f32_e32 v103, v49, v54
	v_add_f32_e32 v0, v55, v10
	v_fma_f32 v9, -0.5, v57, v70
	v_fma_f32 v10, -0.5, v53, v71
	v_add_f32_e32 v62, v72, v7
	v_sub_f32_e32 v7, v7, v36
	v_fma_f32 v72, -0.5, v63, v72
	v_fmac_f32_e32 v73, -0.5, v61
	v_sub_f32_e32 v74, v37, v48
	v_add_f32_e32 v86, v82, v38
	v_sub_f32_e32 v90, v38, v50
	v_sub_f32_e32 v104, v49, v54
	v_add_f32_e32 v38, v67, v48
	v_fma_f32 v48, -0.5, v68, v80
	v_fma_f32 v49, -0.5, v66, v81
	v_add_f32_e32 v96, v76, v39
	v_sub_f32_e32 v99, v39, v52
	v_add_f32_e32 v1, v51, v11
	v_add_f32_e32 v37, v59, v69
	v_fma_f32 v82, -0.5, v88, v82
	v_fmac_f32_e32 v83, -0.5, v85
	v_fma_f32 v68, -0.5, v98, v76
	v_fma_f32 v69, -0.5, v91, v77
	v_add_f32_e32 v70, v102, v54
	v_fma_f32 v78, -0.5, v103, v78
	v_fmac_f32_e32 v79, -0.5, v93
	v_fmamk_f32 v54, v56, 0x3f5db3d7, v9
	v_fmamk_f32 v55, v58, 0xbf5db3d7, v10
	v_fmac_f32_e32 v9, 0xbf5db3d7, v56
	v_fmac_f32_e32 v10, 0x3f5db3d7, v58
	v_add_f32_e32 v36, v62, v36
	v_fmamk_f32 v56, v60, 0x3f5db3d7, v72
	v_fmamk_f32 v57, v7, 0xbf5db3d7, v73
	v_fmac_f32_e32 v72, 0xbf5db3d7, v60
	v_fmac_f32_e32 v73, 0x3f5db3d7, v7
	v_add_f32_e32 v39, v64, v87
	v_fmamk_f32 v58, v65, 0x3f5db3d7, v48
	v_fmamk_f32 v59, v74, 0xbf5db3d7, v49
	v_add_f32_e32 v51, v75, v89
	v_add_f32_e32 v50, v86, v50
	;; [unrolled: 1-line block ×5, first 2 shown]
	v_fmac_f32_e32 v48, 0xbf5db3d7, v65
	v_fmac_f32_e32 v49, 0x3f5db3d7, v74
	v_fmamk_f32 v60, v84, 0x3f5db3d7, v82
	v_fmamk_f32 v61, v90, 0xbf5db3d7, v83
	v_fmac_f32_e32 v82, 0xbf5db3d7, v84
	v_fmac_f32_e32 v83, 0x3f5db3d7, v90
	v_fmamk_f32 v62, v94, 0x3f5db3d7, v68
	v_fmamk_f32 v63, v99, 0xbf5db3d7, v69
	v_fmac_f32_e32 v68, 0xbf5db3d7, v94
	v_fmac_f32_e32 v69, 0x3f5db3d7, v99
	v_fmamk_f32 v76, v101, 0x3f5db3d7, v78
	v_fmac_f32_e32 v78, 0xbf5db3d7, v101
	v_fmamk_f32 v77, v104, 0xbf5db3d7, v79
	v_fmac_f32_e32 v79, 0x3f5db3d7, v104
	ds_write2_b64 v205, v[0:1], v[54:55] offset1:48
	ds_write_b64 v205, v[9:10] offset:768
	ds_write2_b64 v206, v[36:37], v[56:57] offset1:48
	ds_write_b64 v206, v[72:73] offset:768
	;; [unrolled: 2-line block ×6, first 2 shown]
	s_waitcnt lgkmcnt(0)
	s_barrier
	buffer_gl0_inv
	ds_read2_b64 v[96:99], v6 offset0:32 offset1:88
	ds_read2_b64 v[92:95], v6 offset0:176 offset1:232
	;; [unrolled: 1-line block ×4, first 2 shown]
	ds_read2_b64 v[72:75], v160 offset1:56
	ds_read2_b64 v[104:107], v160 offset0:144 offset1:200
	ds_read2_b64 v[100:103], v8 offset0:80 offset1:136
                                        ; implicit-def: $vgpr82
	s_and_saveexec_b32 s0, vcc_lo
	s_cbranch_execz .LBB0_3
; %bb.2:
	v_add_nc_u32_e32 v0, 0x200, v160
	v_add_nc_u32_e32 v1, 0xc00, v160
	ds_read2_b64 v[80:83], v8 offset0:48 offset1:192
	ds_read2_b64 v[68:71], v0 offset0:48 offset1:192
	;; [unrolled: 1-line block ×3, first 2 shown]
	ds_read_b64 v[157:158], v160 offset:7808
.LBB0_3:
	s_or_b32 exec_lo, exec_lo, s0
	v_mad_u64_u32 v[0:1], null, v162, 48, s[14:15]
	v_lshlrev_b32_e32 v215, 3, v213
	v_lshlrev_b32_e32 v213, 3, v214
	s_clause 0x2
	global_load_dwordx4 v[64:67], v[0:1], off offset:1136
	global_load_dwordx4 v[56:59], v[0:1], off offset:1152
	;; [unrolled: 1-line block ×3, first 2 shown]
	v_add_co_u32 v4, s0, 0x800, v0
	v_add_co_ci_u32_e64 v5, s0, 0, v1, s0
	v_add_co_u32 v0, s0, 0xef0, v0
	v_add_co_ci_u32_e64 v1, s0, 0, v1, s0
	s_clause 0x2
	global_load_dwordx4 v[60:63], v[4:5], off offset:1776
	global_load_dwordx4 v[52:55], v[0:1], off offset:16
	;; [unrolled: 1-line block ×3, first 2 shown]
	v_subrev_nc_u32_e32 v0, 32, v162
	v_cndmask_b32_e32 v0, v0, v3, vcc_lo
	v_mul_i32_i24_e32 v1, 48, v0
	v_mul_hi_i32_i24_e32 v0, 48, v0
	v_add_co_u32 v8, s0, s14, v1
	v_add_co_ci_u32_e64 v9, s0, s15, v0, s0
	s_clause 0x2
	global_load_dwordx4 v[4:7], v[8:9], off offset:1136
	global_load_dwordx4 v[0:3], v[8:9], off offset:1152
	;; [unrolled: 1-line block ×3, first 2 shown]
	s_waitcnt vmcnt(8) lgkmcnt(1)
	v_mul_f32_e32 v214, v105, v65
	v_mul_f32_e32 v216, v104, v65
	v_mul_f32_e32 v217, v97, v67
	v_mul_f32_e32 v218, v96, v67
	s_waitcnt vmcnt(7)
	v_mul_f32_e32 v219, v93, v57
	v_mul_f32_e32 v220, v92, v57
	;; [unrolled: 1-line block ×4, first 2 shown]
	s_waitcnt vmcnt(6) lgkmcnt(0)
	v_mul_f32_e32 v223, v101, v37
	v_mul_f32_e32 v224, v100, v37
	;; [unrolled: 1-line block ×4, first 2 shown]
	v_fma_f32 v104, v104, v64, -v214
	v_fmac_f32_e32 v216, v105, v64
	v_fma_f32 v96, v96, v66, -v217
	v_fmac_f32_e32 v218, v97, v66
	;; [unrolled: 2-line block ×6, first 2 shown]
	s_waitcnt vmcnt(5)
	v_mul_f32_e32 v85, v107, v61
	v_mul_f32_e32 v93, v106, v61
	v_mul_f32_e32 v97, v99, v63
	v_mul_f32_e32 v100, v98, v63
	s_waitcnt vmcnt(4)
	v_mul_f32_e32 v101, v95, v53
	v_mul_f32_e32 v105, v94, v53
	v_mul_f32_e32 v214, v91, v55
	v_mul_f32_e32 v217, v90, v55
	;; [unrolled: 5-line block ×3, first 2 shown]
	v_add_f32_e32 v227, v104, v84
	v_add_f32_e32 v228, v216, v226
	v_sub_f32_e32 v84, v104, v84
	v_sub_f32_e32 v104, v216, v226
	v_add_f32_e32 v216, v96, v89
	v_add_f32_e32 v226, v218, v224
	v_sub_f32_e32 v89, v96, v89
	v_sub_f32_e32 v96, v218, v224
	;; [unrolled: 4-line block ×3, first 2 shown]
	v_fma_f32 v85, v106, v60, -v85
	v_fmac_f32_e32 v93, v107, v60
	v_fma_f32 v97, v98, v62, -v97
	v_fmac_f32_e32 v100, v99, v62
	;; [unrolled: 2-line block ×6, first 2 shown]
	s_waitcnt vmcnt(2)
	v_mul_f32_e32 v87, v71, v5
	v_mul_f32_e32 v95, v70, v5
	;; [unrolled: 1-line block ×4, first 2 shown]
	s_waitcnt vmcnt(1)
	v_mul_f32_e32 v101, v79, v1
	v_mul_f32_e32 v102, v78, v1
	s_waitcnt vmcnt(0)
	v_mul_f32_e32 v107, v83, v9
	v_mul_f32_e32 v214, v82, v9
	;; [unrolled: 1-line block ×6, first 2 shown]
	v_add_f32_e32 v222, v216, v227
	v_add_f32_e32 v223, v226, v228
	v_sub_f32_e32 v229, v216, v227
	v_sub_f32_e32 v230, v226, v228
	;; [unrolled: 1-line block ×4, first 2 shown]
	v_add_f32_e32 v231, v88, v89
	v_add_f32_e32 v232, v92, v96
	v_sub_f32_e32 v233, v88, v89
	v_sub_f32_e32 v234, v92, v96
	;; [unrolled: 1-line block ×4, first 2 shown]
	v_add_f32_e32 v235, v85, v86
	v_add_f32_e32 v236, v93, v225
	v_sub_f32_e32 v85, v85, v86
	v_sub_f32_e32 v86, v93, v225
	v_add_f32_e32 v93, v97, v91
	v_add_f32_e32 v225, v100, v221
	v_sub_f32_e32 v91, v97, v91
	v_sub_f32_e32 v97, v100, v221
	;; [unrolled: 4-line block ×3, first 2 shown]
	v_fma_f32 v70, v70, v4, -v87
	v_fmac_f32_e32 v95, v71, v4
	v_fma_f32 v71, v76, v6, -v98
	v_fmac_f32_e32 v99, v77, v6
	;; [unrolled: 2-line block ×5, first 2 shown]
	v_sub_f32_e32 v216, v218, v216
	v_sub_f32_e32 v226, v224, v226
	v_sub_f32_e32 v88, v84, v88
	v_sub_f32_e32 v92, v104, v92
	v_fma_f32 v77, v80, v2, -v103
	v_fmac_f32_e32 v106, v81, v2
	v_add_f32_e32 v80, v218, v222
	v_add_f32_e32 v81, v224, v223
	;; [unrolled: 1-line block ×4, first 2 shown]
	v_mul_f32_e32 v84, 0x3f4a47b2, v227
	v_mul_f32_e32 v87, 0x3f4a47b2, v228
	;; [unrolled: 1-line block ×6, first 2 shown]
	v_add_f32_e32 v157, v93, v235
	v_add_f32_e32 v158, v225, v236
	v_sub_f32_e32 v219, v235, v100
	v_sub_f32_e32 v222, v236, v221
	;; [unrolled: 1-line block ×3, first 2 shown]
	v_add_f32_e32 v224, v90, v91
	v_sub_f32_e32 v227, v90, v91
	v_sub_f32_e32 v228, v94, v97
	v_sub_f32_e32 v91, v91, v85
	v_add_f32_e32 v231, v70, v79
	v_add_f32_e32 v232, v95, v220
	v_sub_f32_e32 v95, v95, v220
	v_add_f32_e32 v220, v71, v78
	v_add_f32_e32 v233, v99, v214
	v_mul_f32_e32 v98, 0x3d64c772, v216
	v_mul_f32_e32 v101, 0x3d64c772, v226
	v_sub_f32_e32 v217, v93, v235
	v_sub_f32_e32 v218, v225, v236
	;; [unrolled: 1-line block ×3, first 2 shown]
	v_add_f32_e32 v225, v94, v97
	v_sub_f32_e32 v90, v85, v90
	v_sub_f32_e32 v94, v86, v94
	;; [unrolled: 1-line block ×6, first 2 shown]
	v_add_f32_e32 v214, v76, v77
	v_add_f32_e32 v234, v102, v106
	v_sub_f32_e32 v76, v77, v76
	v_sub_f32_e32 v77, v106, v102
	v_add_f32_e32 v70, v72, v80
	v_add_f32_e32 v71, v73, v81
	v_fmamk_f32 v72, v216, 0x3d64c772, v84
	v_fmamk_f32 v102, v88, 0x3eae86e6, v103
	;; [unrolled: 1-line block ×3, first 2 shown]
	v_fma_f32 v89, 0x3f5ff5aa, v89, -v103
	v_fma_f32 v96, 0x3f5ff5aa, v96, -v104
	;; [unrolled: 1-line block ×4, first 2 shown]
	v_add_f32_e32 v92, v100, v157
	v_add_f32_e32 v100, v221, v158
	;; [unrolled: 1-line block ×3, first 2 shown]
	v_mul_f32_e32 v104, 0x3f4a47b2, v219
	v_mul_f32_e32 v105, 0x3f4a47b2, v222
	;; [unrolled: 1-line block ×5, first 2 shown]
	v_add_f32_e32 v222, v220, v231
	v_add_f32_e32 v224, v233, v232
	v_fmamk_f32 v73, v226, 0x3d64c772, v87
	v_fma_f32 v98, 0x3f3bfb3b, v229, -v98
	v_fma_f32 v101, 0x3f3bfb3b, v230, -v101
	;; [unrolled: 1-line block ×4, first 2 shown]
	v_add_f32_e32 v86, v225, v86
	v_mul_f32_e32 v107, 0x3d64c772, v93
	v_mul_f32_e32 v158, 0xbf08b237, v227
	;; [unrolled: 1-line block ×3, first 2 shown]
	v_sub_f32_e32 v225, v220, v231
	v_sub_f32_e32 v226, v233, v232
	;; [unrolled: 1-line block ×6, first 2 shown]
	v_add_f32_e32 v230, v76, v78
	v_add_f32_e32 v231, v77, v99
	v_sub_f32_e32 v232, v76, v78
	v_sub_f32_e32 v233, v77, v99
	;; [unrolled: 1-line block ×6, first 2 shown]
	v_fmamk_f32 v80, v80, 0xbf955555, v70
	v_fmamk_f32 v81, v81, 0xbf955555, v71
	v_add_f32_e32 v76, v74, v92
	v_add_f32_e32 v77, v75, v100
	v_fmamk_f32 v223, v223, 0x3d64c772, v105
	v_fma_f32 v157, 0x3f3bfb3b, v218, -v157
	v_fma_f32 v105, 0xbf3bfb3b, v218, -v105
	v_fmamk_f32 v218, v94, 0x3eae86e6, v216
	v_fma_f32 v97, 0x3f5ff5aa, v97, -v216
	v_fma_f32 v216, 0xbeae86e6, v90, -v219
	v_add_f32_e32 v214, v214, v222
	v_add_f32_e32 v219, v234, v224
	v_fmac_f32_e32 v102, 0x3ee1c552, v82
	v_fmac_f32_e32 v106, 0x3ee1c552, v83
	;; [unrolled: 1-line block ×6, first 2 shown]
	v_fmamk_f32 v93, v93, 0x3d64c772, v104
	v_fma_f32 v107, 0x3f3bfb3b, v217, -v107
	v_fma_f32 v104, 0xbf3bfb3b, v217, -v104
	v_fmamk_f32 v217, v90, 0x3eae86e6, v158
	v_fma_f32 v158, 0x3f5ff5aa, v91, -v158
	v_fma_f32 v94, 0xbeae86e6, v94, -v221
	v_add_f32_e32 v221, v230, v79
	v_mul_f32_e32 v74, 0x3f4a47b2, v227
	v_mul_f32_e32 v75, 0x3f4a47b2, v228
	;; [unrolled: 1-line block ×8, first 2 shown]
	v_add_f32_e32 v224, v72, v80
	v_add_f32_e32 v227, v73, v81
	;; [unrolled: 1-line block ×5, first 2 shown]
	v_fmamk_f32 v92, v92, 0xbf955555, v76
	v_fmamk_f32 v100, v100, 0xbf955555, v77
	v_add_f32_e32 v72, v68, v214
	v_add_f32_e32 v73, v69, v219
	;; [unrolled: 1-line block ×4, first 2 shown]
	v_fmac_f32_e32 v217, 0x3ee1c552, v85
	v_fmac_f32_e32 v218, 0x3ee1c552, v86
	;; [unrolled: 1-line block ×6, first 2 shown]
	v_fmamk_f32 v220, v220, 0x3d64c772, v74
	v_fmamk_f32 v229, v229, 0x3d64c772, v75
	v_fma_f32 v231, 0x3f3bfb3b, v225, -v79
	v_fma_f32 v232, 0x3f3bfb3b, v226, -v82
	;; [unrolled: 1-line block ×4, first 2 shown]
	v_fmamk_f32 v74, v235, 0x3eae86e6, v83
	v_fmamk_f32 v75, v236, 0x3eae86e6, v90
	v_fma_f32 v78, 0x3f5ff5aa, v78, -v83
	v_fma_f32 v79, 0x3f5ff5aa, v99, -v90
	;; [unrolled: 1-line block ×4, first 2 shown]
	v_add_f32_e32 v68, v106, v224
	v_sub_f32_e32 v69, v227, v102
	v_sub_f32_e32 v83, v230, v103
	;; [unrolled: 1-line block ×3, first 2 shown]
	v_add_f32_e32 v85, v89, v101
	v_add_f32_e32 v86, v96, v98
	v_sub_f32_e32 v87, v101, v89
	v_add_f32_e32 v89, v103, v230
	v_add_f32_e32 v91, v102, v227
	;; [unrolled: 1-line block ×4, first 2 shown]
	v_fmamk_f32 v102, v214, 0xbf955555, v72
	v_fmamk_f32 v103, v219, 0xbf955555, v73
	v_add_f32_e32 v82, v88, v228
	v_sub_f32_e32 v88, v228, v88
	v_sub_f32_e32 v90, v224, v106
	v_add_f32_e32 v99, v157, v100
	v_add_f32_e32 v101, v104, v92
	;; [unrolled: 1-line block ×3, first 2 shown]
	v_fmac_f32_e32 v74, 0x3ee1c552, v221
	v_fmac_f32_e32 v75, 0x3ee1c552, v95
	;; [unrolled: 1-line block ×6, first 2 shown]
	ds_write_b64 v160, v[68:69] offset:1152
	ds_write_b64 v160, v[82:83] offset:2304
	;; [unrolled: 1-line block ×6, first 2 shown]
	ds_write2_b64 v160, v[70:71], v[76:77] offset1:56
	v_add_f32_e32 v68, v218, v96
	v_sub_f32_e32 v69, v98, v217
	v_add_f32_e32 v82, v220, v102
	v_add_f32_e32 v83, v229, v103
	v_add_f32_e32 v84, v231, v102
	v_add_f32_e32 v86, v232, v103
	v_add_f32_e32 v85, v225, v102
	v_add_f32_e32 v87, v226, v103
	v_add_f32_e32 v93, v107, v92
	v_add_f32_e32 v88, v94, v101
	v_sub_f32_e32 v89, v100, v216
	ds_write_b64 v160, v[68:69] offset:1600
	v_add_f32_e32 v68, v79, v84
	v_sub_f32_e32 v69, v86, v78
	v_sub_f32_e32 v70, v85, v81
	v_add_f32_e32 v71, v80, v87
	v_sub_f32_e32 v76, v82, v75
	v_add_f32_e32 v77, v74, v83
	;; [unrolled: 2-line block ×3, first 2 shown]
	v_add_f32_e32 v92, v97, v93
	v_sub_f32_e32 v93, v99, v158
	v_sub_f32_e32 v94, v101, v94
	v_add_f32_e32 v95, v216, v100
	v_sub_f32_e32 v96, v96, v218
	v_add_f32_e32 v97, v217, v98
	ds_write_b64 v160, v[88:89] offset:2752
	ds_write_b64 v160, v[90:91] offset:3904
	;; [unrolled: 1-line block ×5, first 2 shown]
	s_and_saveexec_b32 s0, vcc_lo
	s_cbranch_execz .LBB0_5
; %bb.4:
	v_add_f32_e32 v89, v78, v86
	v_sub_f32_e32 v88, v84, v79
	v_sub_f32_e32 v79, v87, v80
	v_add_f32_e32 v78, v81, v85
	v_sub_f32_e32 v81, v83, v74
	v_add_f32_e32 v80, v75, v82
	v_add_nc_u32_e32 v74, 0x200, v160
	v_add_nc_u32_e32 v75, 0xc00, v160
	v_add_nc_u32_e32 v82, 0x1400, v160
	ds_write2_b64 v74, v[72:73], v[80:81] offset0:48 offset1:192
	ds_write2_b64 v75, v[78:79], v[88:89] offset0:16 offset1:160
	ds_write2_b64 v82, v[68:69], v[70:71] offset0:48 offset1:192
	ds_write_b64 v160, v[76:77] offset:7808
.LBB0_5:
	s_or_b32 exec_lo, exec_lo, s0
	v_lshlrev_b32_e32 v103, 3, v162
	s_add_u32 s4, s12, 0x1f80
	s_addc_u32 s5, s13, 0
	s_waitcnt lgkmcnt(0)
	s_barrier
	buffer_gl0_inv
	s_clause 0x2
	global_load_dwordx2 v[78:79], v103, s[4:5] offset:448
	global_load_dwordx2 v[85:86], v165, s[4:5]
	global_load_dwordx2 v[80:81], v103, s[4:5]
	ds_read2_b64 v[72:75], v160 offset1:56
	s_waitcnt vmcnt(2) lgkmcnt(0)
	v_mul_f32_e32 v88, v74, v79
	s_waitcnt vmcnt(0)
	v_mul_f32_e32 v82, v73, v81
	v_mul_f32_e32 v83, v72, v81
	v_fmac_f32_e32 v88, v75, v78
	v_fma_f32 v82, v72, v80, -v82
	v_fmac_f32_e32 v83, v73, v80
	v_mul_f32_e32 v72, v75, v79
	ds_write_b64 v160, v[82:83]
	v_add_co_u32 v83, s0, s4, v103
	v_add_co_ci_u32_e64 v84, null, s5, 0, s0
	v_fma_f32 v87, v74, v78, -v72
	v_add_co_u32 v79, s0, 0x1000, v83
	v_add_co_ci_u32_e64 v80, s0, 0, v84, s0
	v_add_co_u32 v89, s0, 0x800, v83
	v_add_co_ci_u32_e64 v90, s0, 0, v84, s0
	s_clause 0x1
	global_load_dwordx2 v[81:82], v[79:80], off offset:384
	global_load_dwordx2 v[91:92], v[89:90], off offset:1984
	v_add_nc_u32_e32 v78, 0x1000, v160
	v_add_co_u32 v95, s0, 0x1800, v83
	v_add_co_ci_u32_e64 v96, s0, 0, v84, s0
	ds_read2_b64 v[72:75], v78 offset0:48 offset1:104
	s_waitcnt vmcnt(1) lgkmcnt(0)
	v_mul_f32_e32 v93, v73, v82
	v_mul_f32_e32 v94, v72, v82
	v_fma_f32 v93, v72, v81, -v93
	v_fmac_f32_e32 v94, v73, v81
	s_clause 0x3
	global_load_dwordx2 v[72:73], v[79:80], off offset:832
	global_load_dwordx2 v[81:82], v[79:80], off offset:1280
	global_load_dwordx2 v[79:80], v[79:80], off offset:1728
	global_load_dwordx2 v[97:98], v[95:96], off offset:128
	s_waitcnt vmcnt(3)
	v_mul_f32_e32 v83, v75, v73
	v_mul_f32_e32 v100, v74, v73
	v_fma_f32 v99, v74, v72, -v83
	s_clause 0x3
	global_load_dwordx2 v[83:84], v103, s[4:5] offset:896
	global_load_dwordx2 v[101:102], v103, s[4:5] offset:1344
	;; [unrolled: 1-line block ×3, first 2 shown]
	global_load_dwordx2 v[105:106], v[89:90], off offset:192
	v_fmac_f32_e32 v100, v75, v72
	ds_read2_b64 v[72:75], v160 offset0:112 offset1:168
	s_waitcnt vmcnt(3) lgkmcnt(0)
	v_mul_f32_e32 v107, v73, v84
	v_mul_f32_e32 v158, v72, v84
	s_waitcnt vmcnt(2)
	v_mul_f32_e32 v217, v74, v102
	v_fma_f32 v157, v72, v83, -v107
	v_mul_f32_e32 v72, v75, v102
	v_fmac_f32_e32 v158, v73, v83
	v_fmac_f32_e32 v217, v75, v101
	v_fma_f32 v216, v74, v101, -v72
	ds_read2_b64 v[72:75], v78 offset0:160 offset1:216
	s_waitcnt lgkmcnt(0)
	v_mul_f32_e32 v83, v73, v82
	v_mul_f32_e32 v102, v72, v82
	v_fma_f32 v101, v72, v81, -v83
	v_mul_f32_e32 v72, v75, v80
	v_fmac_f32_e32 v102, v73, v81
	v_fma_f32 v73, v74, v79, -v72
	v_mul_f32_e32 v74, v74, v80
	v_add_nc_u32_e32 v72, 0x400, v160
	v_fmac_f32_e32 v74, v75, v79
	ds_read2_b64 v[79:82], v72 offset0:96 offset1:152
	s_waitcnt vmcnt(1) lgkmcnt(0)
	v_mul_f32_e32 v75, v80, v104
	v_mul_f32_e32 v219, v79, v104
	s_waitcnt vmcnt(0)
	v_mul_f32_e32 v104, v81, v106
	v_fma_f32 v218, v79, v103, -v75
	v_mul_f32_e32 v75, v82, v106
	v_add_nc_u32_e32 v79, 0x1800, v160
	v_fmac_f32_e32 v219, v80, v103
	v_fmac_f32_e32 v104, v82, v105
	v_fma_f32 v103, v81, v105, -v75
	ds_read2_b64 v[80:83], v79 offset0:16 offset1:72
	s_waitcnt lgkmcnt(0)
	v_mul_f32_e32 v75, v81, v98
	v_mul_f32_e32 v106, v80, v98
	v_fma_f32 v105, v80, v97, -v75
	v_fmac_f32_e32 v106, v81, v97
	s_clause 0x3
	global_load_dwordx2 v[80:81], v[95:96], off offset:576
	global_load_dwordx2 v[95:96], v[95:96], off offset:1472
	;; [unrolled: 1-line block ×4, first 2 shown]
	s_waitcnt vmcnt(3)
	v_mul_f32_e32 v75, v83, v81
	v_mul_f32_e32 v98, v82, v81
	v_fma_f32 v97, v82, v80, -v75
	v_fmac_f32_e32 v98, v83, v80
	v_add_nc_u32_e32 v80, 0x800, v160
	ds_read2_b64 v[81:84], v80 offset0:80 offset1:136
	s_waitcnt vmcnt(1) lgkmcnt(0)
	v_mul_f32_e32 v75, v82, v221
	v_mul_f32_e32 v223, v81, v221
	s_waitcnt vmcnt(0)
	v_mul_f32_e32 v221, v83, v90
	v_fma_f32 v222, v81, v220, -v75
	v_mul_f32_e32 v75, v84, v90
	v_fmac_f32_e32 v223, v82, v220
	v_fmac_f32_e32 v221, v84, v89
	v_fma_f32 v220, v83, v89, -v75
	ds_read2_b64 v[81:84], v80 offset0:192 offset1:248
	s_waitcnt lgkmcnt(0)
	v_mul_f32_e32 v75, v84, v92
	v_mul_f32_e32 v90, v83, v92
	;; [unrolled: 1-line block ×3, first 2 shown]
	v_fma_f32 v89, v83, v91, -v75
	v_fmac_f32_e32 v90, v84, v91
	global_load_dwordx2 v[91:92], v163, s[4:5]
	v_mul_f32_e32 v75, v82, v86
	v_fmac_f32_e32 v225, v82, v85
	v_fma_f32 v224, v81, v85, -v75
	ds_read2_b64 v[81:84], v79 offset0:128 offset1:184
	s_waitcnt vmcnt(0) lgkmcnt(0)
	v_mul_f32_e32 v75, v82, v92
	v_mul_f32_e32 v86, v81, v92
	;; [unrolled: 1-line block ×3, first 2 shown]
	v_fma_f32 v85, v81, v91, -v75
	v_mul_f32_e32 v75, v84, v96
	v_fmac_f32_e32 v86, v82, v91
	v_add_nc_u32_e32 v82, 0xc00, v160
	v_add_nc_u32_e32 v81, 0x1400, v160
	v_fmac_f32_e32 v92, v84, v95
	v_fma_f32 v91, v83, v95, -v75
	ds_write2_b64 v82, v[89:90], v[93:94] offset0:120 offset1:176
	ds_write2_b64 v160, v[87:88], v[157:158] offset0:56 offset1:112
	;; [unrolled: 1-line block ×8, first 2 shown]
	ds_write_b64 v160, v[91:92] offset:7616
	s_waitcnt lgkmcnt(0)
	s_barrier
	buffer_gl0_inv
	ds_read2_b64 v[83:86], v160 offset1:56
	ds_read2_b64 v[87:90], v80 offset0:192 offset1:248
	ds_read2_b64 v[93:96], v78 offset0:48 offset1:104
	;; [unrolled: 1-line block ×8, first 2 shown]
	s_waitcnt lgkmcnt(0)
	s_barrier
	buffer_gl0_inv
	v_sub_f32_e32 v91, v83, v89
	v_sub_f32_e32 v92, v84, v90
	v_fma_f32 v89, v83, 2.0, -v91
	v_fma_f32 v90, v84, 2.0, -v92
	ds_write_b128 v164, v[89:92]
	v_sub_f32_e32 v91, v85, v93
	v_sub_f32_e32 v92, v86, v94
	v_fma_f32 v89, v85, 2.0, -v91
	v_fma_f32 v90, v86, 2.0, -v92
	v_sub_f32_e32 v85, v97, v95
	v_sub_f32_e32 v86, v98, v96
	ds_write_b128 v188, v[89:92]
	v_fma_f32 v83, v97, 2.0, -v85
	v_fma_f32 v84, v98, 2.0, -v86
	ds_write_b128 v186, v[83:86]
	v_sub_f32_e32 v85, v99, v101
	v_sub_f32_e32 v86, v100, v102
	v_fma_f32 v83, v99, 2.0, -v85
	v_fma_f32 v84, v100, 2.0, -v86
	ds_write_b128 v183, v[83:86]
	v_sub_f32_e32 v85, v216, v103
	v_sub_f32_e32 v86, v217, v104
	;; [unrolled: 5-line block ×6, first 2 shown]
	v_fma_f32 v83, v87, 2.0, -v85
	v_fma_f32 v84, v88, 2.0, -v86
	ds_write_b128 v169, v[83:86]
	s_waitcnt lgkmcnt(0)
	s_barrier
	buffer_gl0_inv
	ds_read2_b64 v[83:86], v78 offset0:48 offset1:104
	s_waitcnt lgkmcnt(0)
	v_mul_f32_e32 v73, v146, v83
	v_mul_f32_e32 v75, v146, v84
	v_mul_f32_e32 v102, v146, v86
	v_fma_f32 v101, v145, v84, -v73
	v_mul_f32_e32 v73, v146, v85
	v_fmac_f32_e32 v75, v145, v83
	v_fmac_f32_e32 v102, v145, v85
	v_fma_f32 v103, v145, v86, -v73
	ds_read2_b64 v[83:86], v78 offset0:160 offset1:216
	s_waitcnt lgkmcnt(0)
	v_mul_f32_e32 v73, v146, v83
	v_mul_f32_e32 v104, v146, v84
	v_mul_f32_e32 v106, v146, v86
	v_fma_f32 v105, v145, v84, -v73
	v_mul_f32_e32 v73, v146, v85
	v_fmac_f32_e32 v104, v145, v83
	v_fmac_f32_e32 v106, v145, v85
	v_fma_f32 v107, v145, v86, -v73
	;; [unrolled: 10-line block ×4, first 2 shown]
	ds_read2_b64 v[83:86], v80 offset0:192 offset1:248
	s_waitcnt lgkmcnt(0)
	v_mul_f32_e32 v73, v146, v86
	v_mul_f32_e32 v74, v146, v85
	v_fmac_f32_e32 v73, v145, v85
	v_fma_f32 v74, v145, v86, -v74
	ds_read2_b64 v[85:88], v160 offset1:56
	ds_read2_b64 v[89:92], v160 offset0:112 offset1:168
	ds_read2_b64 v[93:96], v72 offset0:96 offset1:152
	;; [unrolled: 1-line block ×3, first 2 shown]
	s_waitcnt lgkmcnt(0)
	s_barrier
	buffer_gl0_inv
	v_sub_f32_e32 v73, v85, v73
	v_sub_f32_e32 v74, v86, v74
	v_fma_f32 v85, v85, 2.0, -v73
	v_fma_f32 v86, v86, 2.0, -v74
	ds_write2_b64 v166, v[85:86], v[73:74] offset1:2
	v_sub_f32_e32 v73, v87, v75
	v_sub_f32_e32 v74, v88, v101
	v_fma_f32 v85, v87, 2.0, -v73
	v_fma_f32 v86, v88, 2.0, -v74
	ds_write2_b64 v190, v[85:86], v[73:74] offset1:2
	;; [unrolled: 5-line block ×9, first 2 shown]
	s_waitcnt lgkmcnt(0)
	s_barrier
	buffer_gl0_inv
	ds_read2_b64 v[83:86], v78 offset0:48 offset1:104
	s_waitcnt lgkmcnt(0)
	v_mul_f32_e32 v73, v152, v83
	v_mul_f32_e32 v75, v152, v84
	v_mul_f32_e32 v102, v152, v86
	v_fma_f32 v101, v151, v84, -v73
	v_mul_f32_e32 v73, v152, v85
	v_fmac_f32_e32 v75, v151, v83
	v_fmac_f32_e32 v102, v151, v85
	v_fma_f32 v103, v151, v86, -v73
	ds_read2_b64 v[83:86], v78 offset0:160 offset1:216
	s_waitcnt lgkmcnt(0)
	v_mul_f32_e32 v73, v152, v83
	v_mul_f32_e32 v104, v152, v84
	v_mul_f32_e32 v106, v152, v86
	v_fma_f32 v105, v151, v84, -v73
	v_mul_f32_e32 v73, v152, v85
	v_fmac_f32_e32 v104, v151, v83
	v_fmac_f32_e32 v106, v151, v85
	v_fma_f32 v107, v151, v86, -v73
	;; [unrolled: 10-line block ×4, first 2 shown]
	ds_read2_b64 v[83:86], v80 offset0:192 offset1:248
	s_waitcnt lgkmcnt(0)
	v_mul_f32_e32 v73, v152, v86
	v_mul_f32_e32 v74, v152, v85
	v_fmac_f32_e32 v73, v151, v85
	v_fma_f32 v74, v151, v86, -v74
	ds_read2_b64 v[85:88], v160 offset1:56
	ds_read2_b64 v[89:92], v160 offset0:112 offset1:168
	ds_read2_b64 v[93:96], v72 offset0:96 offset1:152
	;; [unrolled: 1-line block ×3, first 2 shown]
	s_waitcnt lgkmcnt(0)
	s_barrier
	buffer_gl0_inv
	v_sub_f32_e32 v73, v85, v73
	v_sub_f32_e32 v74, v86, v74
	v_fma_f32 v85, v85, 2.0, -v73
	v_fma_f32 v86, v86, 2.0, -v74
	ds_write2_b64 v184, v[85:86], v[73:74] offset1:4
	v_sub_f32_e32 v73, v87, v75
	v_sub_f32_e32 v74, v88, v101
	v_fma_f32 v85, v87, 2.0, -v73
	v_fma_f32 v86, v88, 2.0, -v74
	ds_write2_b64 v187, v[85:86], v[73:74] offset1:4
	;; [unrolled: 5-line block ×9, first 2 shown]
	s_waitcnt lgkmcnt(0)
	s_barrier
	buffer_gl0_inv
	ds_read2_b64 v[83:86], v78 offset0:48 offset1:104
	s_waitcnt lgkmcnt(0)
	v_mul_f32_e32 v73, v148, v83
	v_mul_f32_e32 v75, v148, v84
	v_mul_f32_e32 v102, v148, v86
	v_fma_f32 v101, v147, v84, -v73
	v_mul_f32_e32 v73, v148, v85
	v_fmac_f32_e32 v75, v147, v83
	v_fmac_f32_e32 v102, v147, v85
	v_fma_f32 v103, v147, v86, -v73
	ds_read2_b64 v[83:86], v78 offset0:160 offset1:216
	s_waitcnt lgkmcnt(0)
	v_mul_f32_e32 v73, v148, v83
	v_mul_f32_e32 v104, v148, v84
	v_mul_f32_e32 v106, v148, v86
	v_fma_f32 v105, v147, v84, -v73
	v_mul_f32_e32 v73, v148, v85
	v_fmac_f32_e32 v104, v147, v83
	v_fmac_f32_e32 v106, v147, v85
	v_fma_f32 v107, v147, v86, -v73
	;; [unrolled: 10-line block ×4, first 2 shown]
	ds_read2_b64 v[83:86], v80 offset0:192 offset1:248
	s_waitcnt lgkmcnt(0)
	v_mul_f32_e32 v73, v148, v86
	v_mul_f32_e32 v74, v148, v85
	v_fmac_f32_e32 v73, v147, v85
	v_fma_f32 v74, v147, v86, -v74
	ds_read2_b64 v[85:88], v160 offset1:56
	ds_read2_b64 v[89:92], v160 offset0:112 offset1:168
	ds_read2_b64 v[93:96], v72 offset0:96 offset1:152
	;; [unrolled: 1-line block ×3, first 2 shown]
	s_waitcnt lgkmcnt(0)
	s_barrier
	buffer_gl0_inv
	v_sub_f32_e32 v73, v85, v73
	v_sub_f32_e32 v74, v86, v74
	v_fma_f32 v85, v85, 2.0, -v73
	v_fma_f32 v86, v86, 2.0, -v74
	ds_write2_b64 v201, v[85:86], v[73:74] offset1:8
	v_sub_f32_e32 v73, v87, v75
	v_sub_f32_e32 v74, v88, v101
	v_fma_f32 v85, v87, 2.0, -v73
	v_fma_f32 v86, v88, 2.0, -v74
	ds_write2_b64 v203, v[85:86], v[73:74] offset1:8
	;; [unrolled: 5-line block ×9, first 2 shown]
	s_waitcnt lgkmcnt(0)
	s_barrier
	buffer_gl0_inv
	ds_read2_b64 v[83:86], v78 offset0:160 offset1:216
	s_waitcnt lgkmcnt(0)
	v_mul_f32_e32 v75, v15, v84
	v_mul_f32_e32 v73, v15, v83
	;; [unrolled: 1-line block ×4, first 2 shown]
	v_fmac_f32_e32 v75, v14, v83
	v_fma_f32 v73, v14, v84, -v73
	v_fmac_f32_e32 v89, v154, v85
	v_fma_f32 v90, v154, v86, -v74
	ds_read2_b64 v[83:86], v80 offset0:192 offset1:248
	s_waitcnt lgkmcnt(0)
	v_mul_f32_e32 v91, v13, v84
	v_mul_f32_e32 v74, v13, v83
	;; [unrolled: 1-line block ×4, first 2 shown]
	v_fmac_f32_e32 v91, v12, v83
	v_fma_f32 v92, v12, v84, -v74
	v_fmac_f32_e32 v93, v16, v85
	v_fma_f32 v94, v16, v86, -v17
	ds_read2_b64 v[83:86], v79 offset0:16 offset1:72
	s_waitcnt lgkmcnt(0)
	v_mul_f32_e32 v16, v19, v85
	v_mul_f32_e32 v95, v19, v86
	;; [unrolled: 1-line block ×3, first 2 shown]
	v_fma_f32 v96, v18, v86, -v16
	v_mul_f32_e32 v16, v15, v83
	v_fmac_f32_e32 v95, v18, v85
	v_fmac_f32_e32 v97, v14, v83
	v_fma_f32 v98, v14, v84, -v16
	ds_read2_b64 v[16:19], v79 offset0:128 offset1:184
	ds_read2_b64 v[83:86], v78 offset0:48 offset1:104
	s_waitcnt lgkmcnt(1)
	v_mul_f32_e32 v101, v15, v17
	v_mul_f32_e32 v15, v15, v16
	;; [unrolled: 1-line block ×4, first 2 shown]
	s_waitcnt lgkmcnt(0)
	v_mul_f32_e32 v103, v13, v84
	v_fmac_f32_e32 v101, v14, v16
	v_fma_f32 v102, v14, v17, -v15
	ds_read2_b64 v[14:17], v80 offset0:80 offset1:136
	v_fmac_f32_e32 v99, v155, v18
	v_fma_f32 v100, v155, v19, -v74
	v_fmac_f32_e32 v103, v12, v83
	v_mul_f32_e32 v105, v153, v86
	v_fmac_f32_e32 v105, v149, v85
	s_waitcnt lgkmcnt(0)
	v_mul_f32_e32 v18, v13, v15
	v_mul_f32_e32 v107, v150, v17
	v_fmac_f32_e32 v18, v12, v14
	v_mul_f32_e32 v14, v13, v14
	v_mul_f32_e32 v13, v13, v83
	v_fmac_f32_e32 v107, v175, v16
	v_fma_f32 v19, v12, v15, -v14
	v_fma_f32 v104, v12, v84, -v13
	v_mul_f32_e32 v12, v153, v85
	v_sub_f32_e32 v146, v19, v73
	v_fma_f32 v106, v149, v86, -v12
	v_mul_f32_e32 v12, v150, v16
	v_fma_f32 v145, v175, v17, -v12
	ds_read2_b64 v[12:15], v160 offset1:56
	v_add_f32_e32 v17, v19, v73
	s_waitcnt lgkmcnt(0)
	v_add_f32_e32 v16, v13, v19
	v_fma_f32 v13, -0.5, v17, v13
	v_add_f32_e32 v74, v16, v73
	v_add_f32_e32 v16, v12, v18
	;; [unrolled: 1-line block ×4, first 2 shown]
	v_sub_f32_e32 v75, v18, v75
	v_fma_f32 v12, -0.5, v16, v12
	v_fmamk_f32 v88, v75, 0x3f5db3d7, v13
	v_fmac_f32_e32 v13, 0xbf5db3d7, v75
	ds_read2_b64 v[16:19], v160 offset0:112 offset1:168
	ds_read2_b64 v[83:86], v72 offset0:96 offset1:152
	s_waitcnt lgkmcnt(0)
	v_fmamk_f32 v87, v146, 0xbf5db3d7, v12
	v_fmac_f32_e32 v12, 0x3f5db3d7, v146
	s_barrier
	buffer_gl0_inv
	v_sub_f32_e32 v75, v145, v90
	ds_write2_b64 v212, v[73:74], v[87:88] offset1:16
	ds_write_b64 v212, v[12:13] offset:256
	v_add_f32_e32 v12, v107, v89
	v_add_f32_e32 v13, v14, v107
	;; [unrolled: 1-line block ×3, first 2 shown]
	v_sub_f32_e32 v87, v107, v89
	v_fma_f32 v14, -0.5, v12, v14
	v_add_f32_e32 v12, v13, v89
	v_add_f32_e32 v13, v73, v90
	;; [unrolled: 1-line block ×3, first 2 shown]
	v_fmac_f32_e32 v15, -0.5, v73
	v_fmamk_f32 v73, v75, 0xbf5db3d7, v14
	v_fmac_f32_e32 v14, 0x3f5db3d7, v75
	v_sub_f32_e32 v75, v103, v101
	v_fmamk_f32 v74, v87, 0x3f5db3d7, v15
	v_fmac_f32_e32 v15, 0xbf5db3d7, v87
	v_sub_f32_e32 v87, v105, v99
	ds_write2_b64 v211, v[12:13], v[73:74] offset1:16
	ds_write_b64 v211, v[14:15] offset:256
	v_add_f32_e32 v15, v92, v98
	v_add_f32_e32 v14, v91, v97
	v_add_f32_e32 v12, v16, v91
	v_add_f32_e32 v13, v17, v92
	v_sub_f32_e32 v73, v92, v98
	v_fma_f32 v15, -0.5, v15, v17
	v_fma_f32 v14, -0.5, v14, v16
	v_sub_f32_e32 v74, v91, v97
	v_add_f32_e32 v12, v12, v97
	v_add_f32_e32 v13, v13, v98
	v_fmamk_f32 v16, v73, 0xbf5db3d7, v14
	v_fmamk_f32 v17, v74, 0x3f5db3d7, v15
	v_fmac_f32_e32 v14, 0x3f5db3d7, v73
	v_fmac_f32_e32 v15, 0xbf5db3d7, v74
	v_add_f32_e32 v73, v85, v105
	v_add_f32_e32 v74, v86, v106
	ds_write2_b64 v210, v[12:13], v[16:17] offset1:16
	v_add_f32_e32 v12, v93, v95
	ds_write_b64 v210, v[14:15] offset:256
	v_add_f32_e32 v13, v18, v93
	v_add_f32_e32 v14, v19, v94
	v_sub_f32_e32 v16, v94, v96
	v_fma_f32 v18, -0.5, v12, v18
	v_sub_f32_e32 v17, v93, v95
	v_add_f32_e32 v12, v13, v95
	v_add_f32_e32 v13, v14, v96
	;; [unrolled: 1-line block ×5, first 2 shown]
	v_fmac_f32_e32 v19, -0.5, v14
	v_fmamk_f32 v14, v16, 0xbf5db3d7, v18
	v_fmac_f32_e32 v18, 0x3f5db3d7, v16
	v_fmamk_f32 v15, v17, 0x3f5db3d7, v19
	v_fmac_f32_e32 v19, 0xbf5db3d7, v17
	v_sub_f32_e32 v17, v104, v102
	ds_write2_b64 v209, v[12:13], v[14:15] offset1:16
	v_add_f32_e32 v14, v103, v101
	v_add_f32_e32 v15, v104, v102
	;; [unrolled: 1-line block ×4, first 2 shown]
	v_fma_f32 v14, -0.5, v14, v83
	v_fma_f32 v15, -0.5, v15, v84
	v_sub_f32_e32 v84, v106, v100
	v_add_f32_e32 v12, v12, v101
	v_add_f32_e32 v13, v13, v102
	v_fmamk_f32 v16, v17, 0xbf5db3d7, v14
	v_fmac_f32_e32 v14, 0x3f5db3d7, v17
	v_add_f32_e32 v17, v105, v99
	v_fma_f32 v85, -0.5, v17, v85
	v_add_f32_e32 v17, v106, v100
	v_fmamk_f32 v83, v84, 0xbf5db3d7, v85
	v_fmac_f32_e32 v86, -0.5, v17
	v_fmamk_f32 v17, v75, 0x3f5db3d7, v15
	v_fmac_f32_e32 v15, 0xbf5db3d7, v75
	v_fmac_f32_e32 v85, 0x3f5db3d7, v84
	v_fmamk_f32 v84, v87, 0x3f5db3d7, v86
	v_fmac_f32_e32 v86, 0xbf5db3d7, v87
	ds_write_b64 v209, v[18:19] offset:256
	ds_write2_b64 v208, v[12:13], v[16:17] offset1:16
	ds_write_b64 v208, v[14:15] offset:256
	ds_write2_b64 v207, v[73:74], v[83:84] offset1:16
	ds_write_b64 v207, v[85:86] offset:256
	s_waitcnt lgkmcnt(0)
	s_barrier
	buffer_gl0_inv
	ds_read2_b64 v[12:15], v80 offset0:80 offset1:136
	ds_read2_b64 v[16:19], v78 offset0:160 offset1:216
	;; [unrolled: 1-line block ×4, first 2 shown]
	s_waitcnt lgkmcnt(3)
	v_mul_f32_e32 v73, v45, v13
	v_mul_f32_e32 v45, v45, v12
	s_waitcnt lgkmcnt(2)
	v_mul_f32_e32 v74, v47, v17
	s_waitcnt lgkmcnt(0)
	v_mul_f32_e32 v75, v35, v88
	v_mul_f32_e32 v35, v35, v87
	v_fmac_f32_e32 v73, v44, v12
	v_mul_f32_e32 v12, v47, v16
	v_fma_f32 v44, v44, v13, -v45
	v_fmac_f32_e32 v74, v46, v16
	v_mul_f32_e32 v45, v41, v15
	v_mul_f32_e32 v13, v41, v14
	v_fma_f32 v41, v46, v17, -v12
	v_mul_f32_e32 v46, v43, v19
	v_mul_f32_e32 v12, v43, v18
	v_fmac_f32_e32 v45, v40, v14
	v_fma_f32 v40, v40, v15, -v13
	v_mul_f32_e32 v47, v33, v84
	v_fmac_f32_e32 v46, v42, v18
	v_fma_f32 v42, v42, v19, -v12
	ds_read2_b64 v[12:15], v78 offset0:48 offset1:104
	v_mul_f32_e32 v33, v33, v83
	ds_read2_b64 v[16:19], v79 offset0:128 offset1:184
	v_fmac_f32_e32 v47, v32, v83
	v_fmac_f32_e32 v75, v34, v87
	v_fma_f32 v35, v34, v88, -v35
	v_fma_f32 v43, v32, v84, -v33
	v_mul_f32_e32 v84, v31, v90
	v_mul_f32_e32 v87, v31, v89
	ds_read2_b64 v[31:34], v160 offset1:56
	v_mul_f32_e32 v83, v29, v86
	v_mul_f32_e32 v29, v29, v85
	v_fmac_f32_e32 v84, v30, v89
	v_fmac_f32_e32 v83, v28, v85
	v_fma_f32 v85, v28, v86, -v29
	v_fma_f32 v86, v30, v90, -v87
	s_waitcnt lgkmcnt(2)
	v_mul_f32_e32 v87, v25, v13
	v_mul_f32_e32 v25, v25, v12
	;; [unrolled: 1-line block ×3, first 2 shown]
	s_waitcnt lgkmcnt(1)
	v_mul_f32_e32 v91, v23, v19
	v_mul_f32_e32 v88, v27, v17
	v_fmac_f32_e32 v87, v24, v12
	v_fma_f32 v89, v24, v13, -v25
	v_mul_f32_e32 v12, v21, v14
	v_mul_f32_e32 v13, v23, v18
	v_fmac_f32_e32 v90, v20, v14
	v_fmac_f32_e32 v91, v22, v18
	v_mul_f32_e32 v27, v27, v16
	v_fma_f32 v92, v20, v15, -v12
	v_add_f32_e32 v12, v73, v74
	v_fma_f32 v93, v22, v19, -v13
	s_waitcnt lgkmcnt(0)
	v_add_f32_e32 v13, v31, v73
	ds_read2_b64 v[18:21], v160 offset0:112 offset1:168
	v_add_f32_e32 v14, v44, v41
	v_fma_f32 v22, -0.5, v12, v31
	v_sub_f32_e32 v12, v44, v41
	v_add_f32_e32 v24, v13, v74
	v_add_f32_e32 v13, v32, v44
	v_fmac_f32_e32 v88, v26, v16
	v_fma_f32 v17, v26, v17, -v27
	v_fma_f32 v23, -0.5, v14, v32
	v_sub_f32_e32 v14, v73, v74
	v_fmamk_f32 v26, v12, 0xbf5db3d7, v22
	v_fmac_f32_e32 v22, 0x3f5db3d7, v12
	v_add_f32_e32 v25, v13, v41
	v_add_f32_e32 v12, v45, v46
	;; [unrolled: 1-line block ×3, first 2 shown]
	v_fmamk_f32 v27, v14, 0x3f5db3d7, v23
	v_fmac_f32_e32 v23, 0xbf5db3d7, v14
	v_add_f32_e32 v14, v40, v42
	v_fma_f32 v33, -0.5, v12, v33
	v_sub_f32_e32 v12, v40, v42
	v_add_f32_e32 v28, v13, v46
	v_add_f32_e32 v13, v34, v40
	v_fmac_f32_e32 v34, -0.5, v14
	v_sub_f32_e32 v14, v45, v46
	v_fmamk_f32 v30, v12, 0xbf5db3d7, v33
	v_fmac_f32_e32 v33, 0x3f5db3d7, v12
	v_add_f32_e32 v12, v47, v75
	v_add_f32_e32 v29, v13, v42
	s_waitcnt lgkmcnt(0)
	v_add_f32_e32 v13, v18, v47
	v_add_f32_e32 v15, v19, v43
	v_fmamk_f32 v31, v14, 0x3f5db3d7, v34
	v_fma_f32 v40, -0.5, v12, v18
	v_sub_f32_e32 v16, v43, v35
	v_fmac_f32_e32 v34, 0xbf5db3d7, v14
	v_add_f32_e32 v18, v43, v35
	v_add_f32_e32 v43, v15, v35
	;; [unrolled: 1-line block ×3, first 2 shown]
	ds_read2_b64 v[12:15], v72 offset0:96 offset1:152
	v_fmamk_f32 v44, v16, 0xbf5db3d7, v40
	v_fmac_f32_e32 v40, 0x3f5db3d7, v16
	v_fma_f32 v41, -0.5, v18, v19
	v_sub_f32_e32 v16, v47, v75
	v_add_f32_e32 v32, v83, v84
	v_add_f32_e32 v19, v85, v86
	;; [unrolled: 1-line block ×3, first 2 shown]
	v_sub_f32_e32 v35, v92, v93
	v_fmamk_f32 v45, v16, 0x3f5db3d7, v41
	v_fmac_f32_e32 v41, 0xbf5db3d7, v16
	v_add_f32_e32 v16, v21, v85
	v_fma_f32 v20, -0.5, v32, v20
	v_sub_f32_e32 v32, v85, v86
	v_fmac_f32_e32 v21, -0.5, v19
	v_sub_f32_e32 v19, v83, v84
	v_add_f32_e32 v73, v16, v86
	v_add_f32_e32 v16, v87, v88
	v_fmamk_f32 v46, v32, 0xbf5db3d7, v20
	v_fmac_f32_e32 v20, 0x3f5db3d7, v32
	v_add_f32_e32 v72, v18, v84
	v_fmamk_f32 v47, v19, 0x3f5db3d7, v21
	v_fmac_f32_e32 v21, 0xbf5db3d7, v19
	s_waitcnt lgkmcnt(0)
	v_add_f32_e32 v18, v12, v87
	v_add_f32_e32 v19, v13, v89
	v_sub_f32_e32 v32, v89, v17
	v_fma_f32 v16, -0.5, v16, v12
	v_add_f32_e32 v12, v89, v17
	v_add_f32_e32 v74, v18, v88
	;; [unrolled: 1-line block ×4, first 2 shown]
	v_fmamk_f32 v83, v32, 0xbf5db3d7, v16
	v_fmac_f32_e32 v16, 0x3f5db3d7, v32
	v_fma_f32 v17, -0.5, v12, v13
	v_add_f32_e32 v12, v14, v90
	v_add_f32_e32 v32, v92, v93
	v_sub_f32_e32 v13, v87, v88
	v_fma_f32 v14, -0.5, v19, v14
	v_add_f32_e32 v18, v12, v91
	v_add_f32_e32 v12, v15, v92
	v_fmac_f32_e32 v15, -0.5, v32
	v_sub_f32_e32 v32, v90, v91
	v_fmamk_f32 v84, v13, 0x3f5db3d7, v17
	v_fmac_f32_e32 v17, 0xbf5db3d7, v13
	v_add_f32_e32 v19, v12, v93
	v_fmamk_f32 v12, v35, 0xbf5db3d7, v14
	v_fmac_f32_e32 v14, 0x3f5db3d7, v35
	v_fmamk_f32 v13, v32, 0x3f5db3d7, v15
	v_fmac_f32_e32 v15, 0xbf5db3d7, v32
	s_barrier
	buffer_gl0_inv
	ds_write2_b64 v205, v[24:25], v[26:27] offset1:48
	ds_write_b64 v205, v[22:23] offset:768
	ds_write2_b64 v206, v[28:29], v[30:31] offset1:48
	ds_write_b64 v206, v[33:34] offset:768
	;; [unrolled: 2-line block ×6, first 2 shown]
	s_waitcnt lgkmcnt(0)
	s_barrier
	buffer_gl0_inv
	ds_read2_b64 v[20:23], v160 offset1:56
	ds_read2_b64 v[72:75], v160 offset0:144 offset1:200
	ds_read2_b64 v[40:43], v80 offset0:32 offset1:88
	;; [unrolled: 1-line block ×6, first 2 shown]
	s_and_saveexec_b32 s0, vcc_lo
	s_cbranch_execz .LBB0_7
; %bb.6:
	v_add_nc_u32_e32 v16, 0x200, v160
	ds_read2_b64 v[12:15], v82 offset0:16 offset1:160
	ds_read2_b64 v[68:71], v81 offset0:48 offset1:192
	;; [unrolled: 1-line block ×3, first 2 shown]
	ds_read_b64 v[76:77], v160 offset:7808
.LBB0_7:
	s_or_b32 exec_lo, exec_lo, s0
	s_waitcnt lgkmcnt(5)
	v_mul_f32_e32 v78, v65, v73
	v_mul_f32_e32 v65, v65, v72
	s_waitcnt lgkmcnt(4)
	v_mul_f32_e32 v79, v67, v41
	v_mul_f32_e32 v67, v67, v40
	v_fmac_f32_e32 v78, v64, v72
	v_fma_f32 v64, v64, v73, -v65
	v_fmac_f32_e32 v79, v66, v40
	v_fma_f32 v40, v66, v41, -v67
	s_waitcnt lgkmcnt(3)
	v_mul_f32_e32 v41, v57, v45
	v_mul_f32_e32 v57, v57, v44
	s_waitcnt lgkmcnt(2)
	v_mul_f32_e32 v65, v59, v25
	v_mul_f32_e32 v59, v59, v24
	s_waitcnt lgkmcnt(1)
	v_mul_f32_e32 v66, v37, v29
	v_fmac_f32_e32 v41, v56, v44
	v_fma_f32 v44, v56, v45, -v57
	v_fmac_f32_e32 v65, v58, v24
	v_fma_f32 v24, v58, v25, -v59
	v_fmac_f32_e32 v66, v36, v28
	v_mul_f32_e32 v25, v37, v28
	s_waitcnt lgkmcnt(0)
	v_mul_f32_e32 v28, v39, v33
	v_mul_f32_e32 v37, v39, v32
	;; [unrolled: 1-line block ×4, first 2 shown]
	v_fma_f32 v25, v36, v29, -v25
	v_fmac_f32_e32 v28, v38, v32
	v_fma_f32 v29, v38, v33, -v37
	v_fma_f32 v36, v60, v75, -v45
	v_mul_f32_e32 v37, v63, v43
	v_mul_f32_e32 v32, v63, v42
	;; [unrolled: 1-line block ×5, first 2 shown]
	v_fmac_f32_e32 v37, v62, v42
	v_fma_f32 v42, v62, v43, -v32
	v_fmac_f32_e32 v38, v52, v46
	v_fmac_f32_e32 v45, v54, v26
	v_mul_f32_e32 v26, v55, v26
	v_mul_f32_e32 v46, v49, v31
	;; [unrolled: 1-line block ×3, first 2 shown]
	v_fma_f32 v43, v52, v47, -v33
	v_mul_f32_e32 v47, v51, v35
	v_mul_f32_e32 v33, v51, v34
	v_fma_f32 v49, v54, v27, -v26
	v_fmac_f32_e32 v46, v48, v30
	v_fma_f32 v48, v48, v31, -v32
	v_add_f32_e32 v26, v78, v28
	v_add_f32_e32 v27, v64, v29
	;; [unrolled: 1-line block ×4, first 2 shown]
	v_fmac_f32_e32 v47, v50, v34
	v_fma_f32 v50, v50, v35, -v33
	v_sub_f32_e32 v28, v78, v28
	v_sub_f32_e32 v29, v64, v29
	;; [unrolled: 1-line block ×4, first 2 shown]
	v_add_f32_e32 v33, v41, v65
	v_add_f32_e32 v34, v44, v24
	v_sub_f32_e32 v35, v65, v41
	v_sub_f32_e32 v24, v24, v44
	v_add_f32_e32 v40, v30, v26
	v_add_f32_e32 v41, v31, v27
	v_sub_f32_e32 v44, v30, v26
	v_sub_f32_e32 v51, v31, v27
	;; [unrolled: 1-line block ×6, first 2 shown]
	v_add_f32_e32 v52, v35, v32
	v_add_f32_e32 v53, v24, v25
	v_sub_f32_e32 v54, v35, v32
	v_sub_f32_e32 v55, v24, v25
	;; [unrolled: 1-line block ×3, first 2 shown]
	v_add_f32_e32 v33, v33, v40
	v_add_f32_e32 v34, v34, v41
	v_sub_f32_e32 v25, v25, v29
	v_sub_f32_e32 v35, v28, v35
	;; [unrolled: 1-line block ×3, first 2 shown]
	v_add_f32_e32 v28, v52, v28
	v_add_f32_e32 v29, v53, v29
	;; [unrolled: 1-line block ×4, first 2 shown]
	v_mul_f32_e32 v26, 0x3f4a47b2, v26
	v_mul_f32_e32 v27, 0x3f4a47b2, v27
	;; [unrolled: 1-line block ×8, first 2 shown]
	v_fmamk_f32 v33, v33, 0xbf955555, v20
	v_fmamk_f32 v34, v34, 0xbf955555, v21
	;; [unrolled: 1-line block ×4, first 2 shown]
	v_fma_f32 v40, 0x3f3bfb3b, v44, -v40
	v_fma_f32 v41, 0x3f3bfb3b, v51, -v41
	;; [unrolled: 1-line block ×4, first 2 shown]
	v_fmamk_f32 v44, v35, 0xbeae86e6, v52
	v_fmamk_f32 v51, v24, 0xbeae86e6, v53
	v_fma_f32 v32, 0xbf5ff5aa, v32, -v52
	v_fma_f32 v52, 0xbf5ff5aa, v25, -v53
	;; [unrolled: 1-line block ×4, first 2 shown]
	v_fmac_f32_e32 v39, v60, v74
	v_add_f32_e32 v54, v30, v33
	v_add_f32_e32 v55, v31, v34
	;; [unrolled: 1-line block ×6, first 2 shown]
	v_fmac_f32_e32 v44, 0xbee1c552, v28
	v_fmac_f32_e32 v32, 0xbee1c552, v28
	v_fmac_f32_e32 v53, 0xbee1c552, v29
	v_fmac_f32_e32 v35, 0xbee1c552, v28
	v_fmac_f32_e32 v51, 0xbee1c552, v29
	v_fmac_f32_e32 v52, 0xbee1c552, v29
	v_sub_f32_e32 v25, v55, v44
	v_add_f32_e32 v26, v53, v33
	v_sub_f32_e32 v27, v34, v35
	v_add_f32_e32 v29, v32, v31
	v_sub_f32_e32 v31, v31, v32
	v_sub_f32_e32 v32, v33, v53
	v_add_f32_e32 v33, v35, v34
	v_add_f32_e32 v35, v44, v55
	;; [unrolled: 1-line block ×4, first 2 shown]
	v_sub_f32_e32 v39, v39, v47
	v_add_f32_e32 v44, v37, v46
	v_add_f32_e32 v47, v42, v48
	v_sub_f32_e32 v36, v36, v50
	v_sub_f32_e32 v37, v37, v46
	;; [unrolled: 1-line block ×3, first 2 shown]
	v_add_f32_e32 v46, v38, v45
	v_add_f32_e32 v48, v43, v49
	v_sub_f32_e32 v38, v45, v38
	v_sub_f32_e32 v43, v49, v43
	v_add_f32_e32 v45, v44, v40
	v_add_f32_e32 v49, v47, v41
	;; [unrolled: 1-line block ×3, first 2 shown]
	v_sub_f32_e32 v28, v30, v52
	v_add_f32_e32 v30, v52, v30
	v_sub_f32_e32 v34, v54, v51
	v_sub_f32_e32 v50, v44, v40
	;; [unrolled: 1-line block ×7, first 2 shown]
	v_add_f32_e32 v52, v38, v37
	v_add_f32_e32 v53, v43, v42
	v_sub_f32_e32 v54, v38, v37
	v_sub_f32_e32 v55, v43, v42
	;; [unrolled: 1-line block ×3, first 2 shown]
	v_add_f32_e32 v45, v46, v45
	v_add_f32_e32 v46, v48, v49
	v_sub_f32_e32 v42, v42, v36
	v_sub_f32_e32 v38, v39, v38
	;; [unrolled: 1-line block ×3, first 2 shown]
	v_add_f32_e32 v39, v52, v39
	v_add_f32_e32 v36, v53, v36
	;; [unrolled: 1-line block ×4, first 2 shown]
	v_mul_f32_e32 v40, 0x3f4a47b2, v40
	v_mul_f32_e32 v41, 0x3f4a47b2, v41
	;; [unrolled: 1-line block ×8, first 2 shown]
	v_fmamk_f32 v45, v45, 0xbf955555, v22
	v_fmamk_f32 v46, v46, 0xbf955555, v23
	;; [unrolled: 1-line block ×4, first 2 shown]
	v_fma_f32 v48, 0x3f3bfb3b, v50, -v48
	v_fma_f32 v49, 0x3f3bfb3b, v51, -v49
	;; [unrolled: 1-line block ×4, first 2 shown]
	v_fmamk_f32 v50, v38, 0xbeae86e6, v52
	v_fmamk_f32 v51, v43, 0xbeae86e6, v53
	v_fma_f32 v52, 0xbf5ff5aa, v37, -v52
	v_fma_f32 v42, 0xbf5ff5aa, v42, -v53
	;; [unrolled: 1-line block ×4, first 2 shown]
	v_add_f32_e32 v55, v44, v45
	v_add_f32_e32 v47, v47, v46
	;; [unrolled: 1-line block ×6, first 2 shown]
	v_fmac_f32_e32 v50, 0xbee1c552, v39
	v_fmac_f32_e32 v51, 0xbee1c552, v36
	;; [unrolled: 1-line block ×6, first 2 shown]
	v_add_f32_e32 v36, v51, v55
	v_sub_f32_e32 v37, v47, v50
	v_add_f32_e32 v38, v54, v45
	v_sub_f32_e32 v39, v46, v53
	v_sub_f32_e32 v40, v43, v42
	v_add_f32_e32 v41, v52, v44
	v_add_f32_e32 v42, v42, v43
	v_sub_f32_e32 v43, v44, v52
	v_sub_f32_e32 v44, v45, v54
	v_add_f32_e32 v45, v53, v46
	v_sub_f32_e32 v46, v55, v51
	v_add_f32_e32 v47, v50, v47
	ds_write_b64 v160, v[24:25] offset:1152
	ds_write_b64 v160, v[26:27] offset:2304
	;; [unrolled: 1-line block ×6, first 2 shown]
	ds_write2_b64 v160, v[20:21], v[22:23] offset1:56
	ds_write_b64 v160, v[36:37] offset:1600
	ds_write_b64 v160, v[38:39] offset:2752
	;; [unrolled: 1-line block ×6, first 2 shown]
	s_and_saveexec_b32 s0, vcc_lo
	s_cbranch_execz .LBB0_9
; %bb.8:
	v_mul_f32_e32 v20, v5, v19
	v_mul_f32_e32 v23, v7, v13
	;; [unrolled: 1-line block ×10, first 2 shown]
	v_fmac_f32_e32 v23, v6, v12
	v_fmac_f32_e32 v20, v4, v18
	;; [unrolled: 1-line block ×3, first 2 shown]
	v_fma_f32 v10, v10, v77, -v11
	v_fma_f32 v4, v4, v19, -v5
	v_mul_f32_e32 v1, v1, v14
	v_mul_f32_e32 v3, v3, v68
	v_fma_f32 v5, v8, v71, -v9
	v_fma_f32 v6, v6, v13, -v7
	v_fmac_f32_e32 v21, v2, v68
	v_fmac_f32_e32 v22, v0, v14
	;; [unrolled: 1-line block ×3, first 2 shown]
	v_add_f32_e32 v8, v10, v4
	v_fma_f32 v0, v0, v15, -v1
	v_fma_f32 v2, v2, v69, -v3
	v_add_f32_e32 v9, v5, v6
	v_sub_f32_e32 v28, v20, v25
	v_add_f32_e32 v14, v25, v20
	v_add_f32_e32 v15, v24, v23
	;; [unrolled: 1-line block ×5, first 2 shown]
	v_sub_f32_e32 v26, v21, v22
	v_sub_f32_e32 v27, v23, v24
	;; [unrolled: 1-line block ×3, first 2 shown]
	v_add_f32_e32 v3, v1, v3
	v_sub_f32_e32 v19, v1, v9
	v_sub_f32_e32 v22, v14, v20
	;; [unrolled: 1-line block ×3, first 2 shown]
	v_mul_f32_e32 v13, 0x3f4a47b2, v13
	v_add_f32_e32 v1, v17, v3
	v_add_f32_e32 v17, v15, v14
	v_sub_f32_e32 v5, v6, v5
	v_sub_f32_e32 v4, v4, v10
	;; [unrolled: 1-line block ×3, first 2 shown]
	v_mul_f32_e32 v21, 0x3d64c772, v19
	v_fmamk_f32 v19, v19, 0x3d64c772, v13
	v_fmamk_f32 v23, v3, 0xbf955555, v1
	v_add_f32_e32 v3, v20, v17
	v_mul_f32_e32 v6, 0x3f4a47b2, v22
	v_sub_f32_e32 v17, v20, v15
	v_sub_f32_e32 v10, v2, v5
	;; [unrolled: 1-line block ×7, first 2 shown]
	v_mul_f32_e32 v18, 0x3f08b237, v29
	v_add_f32_e32 v7, v26, v27
	v_add_f32_e32 v0, v16, v3
	;; [unrolled: 1-line block ×3, first 2 shown]
	v_fmamk_f32 v19, v17, 0x3d64c772, v6
	v_sub_f32_e32 v22, v4, v2
	v_mul_f32_e32 v10, 0x3f08b237, v10
	v_mul_f32_e32 v17, 0x3d64c772, v17
	v_add_f32_e32 v2, v2, v5
	v_fma_f32 v5, 0xbf3bfb3b, v8, -v13
	v_mul_f32_e32 v13, 0xbf5ff5aa, v14
	v_mul_f32_e32 v26, 0xbf5ff5aa, v24
	v_fmamk_f32 v12, v11, 0xbeae86e6, v18
	v_add_f32_e32 v7, v7, v28
	v_fmamk_f32 v20, v3, 0xbf955555, v0
	v_fmamk_f32 v25, v22, 0xbeae86e6, v10
	v_fma_f32 v6, 0xbf3bfb3b, v9, -v6
	v_add_f32_e32 v2, v2, v4
	v_add_f32_e32 v15, v5, v23
	v_fma_f32 v13, 0x3eae86e6, v22, -v13
	v_fma_f32 v4, 0x3f3bfb3b, v8, -v21
	;; [unrolled: 1-line block ×6, first 2 shown]
	v_fmac_f32_e32 v12, 0xbee1c552, v7
	v_add_f32_e32 v19, v19, v20
	v_add_f32_e32 v26, v6, v20
	v_fmac_f32_e32 v13, 0xbee1c552, v2
	v_add_f32_e32 v9, v4, v23
	v_fmac_f32_e32 v8, 0xbee1c552, v7
	v_fmac_f32_e32 v10, 0xbee1c552, v2
	v_add_f32_e32 v14, v5, v20
	v_fmac_f32_e32 v25, 0xbee1c552, v2
	v_fmac_f32_e32 v11, 0xbee1c552, v7
	v_add_f32_e32 v3, v12, v16
	v_sub_f32_e32 v4, v26, v13
	v_sub_f32_e32 v7, v9, v8
	v_add_f32_e32 v6, v10, v14
	v_add_f32_e32 v9, v8, v9
	v_sub_f32_e32 v8, v14, v10
	v_add_f32_e32 v10, v13, v26
	v_sub_f32_e32 v13, v16, v12
	v_add_f32_e32 v12, v25, v19
	v_add_nc_u32_e32 v14, 0x200, v160
	v_add_f32_e32 v5, v11, v15
	v_sub_f32_e32 v11, v15, v11
	v_add_nc_u32_e32 v15, 0xc00, v160
	v_add_nc_u32_e32 v16, 0x1400, v160
	v_sub_f32_e32 v2, v19, v25
	ds_write2_b64 v14, v[0:1], v[12:13] offset0:48 offset1:192
	ds_write2_b64 v15, v[10:11], v[8:9] offset0:16 offset1:160
	;; [unrolled: 1-line block ×3, first 2 shown]
	ds_write_b64 v160, v[2:3] offset:7808
.LBB0_9:
	s_or_b32 exec_lo, exec_lo, s0
	v_add_nc_u32_e32 v38, 0x800, v160
	s_waitcnt lgkmcnt(0)
	s_barrier
	buffer_gl0_inv
	ds_read2_b64 v[0:3], v160 offset1:56
	ds_read2_b64 v[4:7], v38 offset0:192 offset1:248
	v_mad_u64_u32 v[16:17], null, s10, v114, 0
	v_mad_u64_u32 v[18:19], null, s8, v162, 0
	v_add_nc_u32_e32 v36, 0x1000, v160
	ds_read2_b64 v[8:11], v160 offset0:112 offset1:168
	ds_read2_b64 v[12:15], v36 offset0:48 offset1:104
	s_mov_b32 s0, 0x10410410
	v_mad_u64_u32 v[24:25], null, s11, v114, v[17:18]
	s_mov_b32 s1, 0x3f504104
	s_mul_i32 s5, s9, 0xfc0
	s_mul_hi_u32 s6, s8, 0xfc0
	s_mul_i32 s4, s8, 0xfc0
	s_add_i32 s5, s6, s5
	v_add_nc_u32_e32 v42, 0x1800, v160
	s_waitcnt lgkmcnt(3)
	v_mul_f32_e32 v20, v138, v1
	v_mul_f32_e32 v21, v138, v0
	s_waitcnt lgkmcnt(2)
	v_mul_f32_e32 v22, v140, v7
	v_mul_f32_e32 v23, v140, v6
	;; [unrolled: 1-line block ×3, first 2 shown]
	v_fmac_f32_e32 v20, v137, v0
	v_fma_f32 v21, v137, v1, -v21
	v_fmac_f32_e32 v22, v139, v6
	v_fma_f32 v23, v139, v7, -v23
	v_mul_f32_e32 v27, v134, v2
	v_cvt_f64_f32_e32 v[0:1], v20
	v_cvt_f64_f32_e32 v[6:7], v21
	;; [unrolled: 1-line block ×3, first 2 shown]
	v_fmac_f32_e32 v26, v133, v2
	v_fma_f32 v17, v133, v3, -v27
	v_cvt_f64_f32_e32 v[22:23], v23
	s_waitcnt lgkmcnt(1)
	v_mul_f32_e32 v29, v144, v8
	v_mul_f32_e32 v28, v144, v9
	v_cvt_f64_f32_e32 v[2:3], v26
	v_fma_f32 v29, v143, v9, -v29
	v_fmac_f32_e32 v28, v143, v8
	v_mul_f64 v[0:1], v[0:1], s[0:1]
	v_mul_f64 v[6:7], v[6:7], s[0:1]
	v_mad_u64_u32 v[25:26], null, s9, v162, v[19:20]
	v_cvt_f64_f32_e32 v[26:27], v17
	v_mov_b32_e32 v17, v24
	s_waitcnt lgkmcnt(0)
	v_mul_f32_e32 v24, v142, v13
	v_mul_f64 v[8:9], v[20:21], s[0:1]
	v_mul_f64 v[2:3], v[2:3], s[0:1]
	;; [unrolled: 1-line block ×3, first 2 shown]
	v_mov_b32_e32 v19, v25
	v_mul_f32_e32 v25, v142, v12
	v_fmac_f32_e32 v24, v141, v12
	v_lshlrev_b64 v[16:17], 3, v[16:17]
	v_cvt_f64_f32_e32 v[22:23], v29
	v_lshlrev_b64 v[18:19], 3, v[18:19]
	v_fma_f32 v30, v141, v13, -v25
	v_cvt_f64_f32_e32 v[24:25], v24
	v_cvt_f64_f32_e32 v[12:13], v28
	v_add_co_u32 v44, vcc_lo, s2, v16
	v_add_co_ci_u32_e32 v45, vcc_lo, s3, v17, vcc_lo
	v_cvt_f64_f32_e32 v[16:17], v30
	v_cvt_f32_f64_e32 v28, v[0:1]
	v_mul_f32_e32 v0, v136, v15
	v_mul_f64 v[26:27], v[26:27], s[0:1]
	v_mul_f32_e32 v1, v136, v14
	v_cvt_f32_f64_e32 v29, v[6:7]
	v_cvt_f32_f64_e32 v30, v[8:9]
	;; [unrolled: 1-line block ×3, first 2 shown]
	v_mul_f32_e32 v2, v132, v11
	v_fmac_f32_e32 v0, v135, v14
	v_fma_f32 v1, v135, v15, -v1
	v_mul_f32_e32 v3, v132, v10
	v_cvt_f32_f64_e32 v31, v[20:21]
	v_fmac_f32_e32 v2, v131, v10
	v_mul_f64 v[14:15], v[22:23], s[0:1]
	v_cvt_f64_f32_e32 v[22:23], v0
	v_mul_f64 v[24:25], v[24:25], s[0:1]
	v_fma_f32 v6, v131, v11, -v3
	v_cvt_f64_f32_e32 v[34:35], v2
	v_add_co_u32 v18, vcc_lo, v44, v18
	v_add_nc_u32_e32 v7, 0x400, v160
	v_mul_f64 v[16:17], v[16:17], s[0:1]
	v_mul_f64 v[12:13], v[12:13], s[0:1]
	v_add_co_ci_u32_e32 v19, vcc_lo, v45, v19, vcc_lo
	v_cvt_f32_f64_e32 v33, v[26:27]
	v_cvt_f64_f32_e32 v[26:27], v1
	ds_read2_b64 v[0:3], v36 offset0:160 offset1:216
	s_mul_hi_u32 s2, s8, 0xfffff200
	v_add_co_u32 v20, vcc_lo, v18, s4
	v_cvt_f64_f32_e32 v[36:37], v6
	ds_read2_b64 v[6:9], v7 offset0:96 offset1:152
	s_mul_i32 s3, s9, 0xfffff200
	s_sub_i32 s2, s2, s8
	v_add_co_ci_u32_e32 v21, vcc_lo, s5, v19, vcc_lo
	s_add_i32 s2, s2, s3
	s_mul_i32 s3, s8, 0xfffff200
	v_add_co_u32 v10, vcc_lo, v20, s3
	v_add_co_ci_u32_e32 v11, vcc_lo, s2, v21, vcc_lo
	global_store_dwordx2 v[18:19], v[28:29], off
	global_store_dwordx2 v[20:21], v[30:31], off
	;; [unrolled: 1-line block ×3, first 2 shown]
	v_cvt_f32_f64_e32 v18, v[24:25]
	s_waitcnt lgkmcnt(1)
	v_mul_f32_e32 v24, v130, v1
	v_cvt_f32_f64_e32 v19, v[16:17]
	v_cvt_f32_f64_e32 v12, v[12:13]
	;; [unrolled: 1-line block ×3, first 2 shown]
	v_mul_f64 v[16:17], v[26:27], s[0:1]
	v_fmac_f32_e32 v24, v129, v0
	v_mul_f32_e32 v0, v130, v0
	s_waitcnt lgkmcnt(0)
	v_mul_f32_e32 v26, v128, v7
	v_mul_f32_e32 v27, v128, v6
	;; [unrolled: 1-line block ×4, first 2 shown]
	v_fma_f32 v0, v129, v1, -v0
	v_fmac_f32_e32 v26, v127, v6
	v_fma_f32 v1, v127, v7, -v27
	v_mul_f64 v[20:21], v[34:35], s[0:1]
	v_cvt_f64_f32_e32 v[24:25], v24
	v_cvt_f64_f32_e32 v[6:7], v0
	v_fma_f32 v0, v125, v3, -v30
	v_add_co_u32 v10, vcc_lo, v10, s4
	v_mul_f64 v[14:15], v[22:23], s[0:1]
	v_add_co_ci_u32_e32 v11, vcc_lo, s5, v11, vcc_lo
	v_cvt_f64_f32_e32 v[28:29], v1
	v_fmac_f32_e32 v32, v125, v2
	v_cvt_f64_f32_e32 v[34:35], v0
	ds_read2_b64 v[0:3], v42 offset0:16 offset1:72
	v_add_co_u32 v30, vcc_lo, v10, s3
	v_add_co_ci_u32_e32 v31, vcc_lo, s2, v11, vcc_lo
	v_mul_f64 v[22:23], v[36:37], s[0:1]
	v_cvt_f64_f32_e32 v[26:27], v26
	global_store_dwordx2 v[10:11], v[18:19], off
	global_store_dwordx2 v[30:31], v[12:13], off
	ds_read2_b64 v[10:13], v38 offset0:80 offset1:136
	v_cvt_f64_f32_e32 v[32:33], v32
	v_cvt_f32_f64_e32 v18, v[20:21]
	v_mul_f64 v[20:21], v[24:25], s[0:1]
	v_mul_f64 v[6:7], v[6:7], s[0:1]
	v_cvt_f32_f64_e32 v14, v[14:15]
	v_cvt_f32_f64_e32 v15, v[16:17]
	v_add_co_u32 v16, vcc_lo, v30, s4
	v_mul_f32_e32 v30, v124, v9
	s_waitcnt lgkmcnt(1)
	v_mul_f32_e32 v36, v120, v1
	v_add_co_ci_u32_e32 v17, vcc_lo, s5, v31, vcc_lo
	v_mul_f32_e32 v31, v124, v8
	v_fmac_f32_e32 v30, v123, v8
	v_fmac_f32_e32 v36, v119, v0
	v_mul_f32_e32 v0, v120, v0
	v_cvt_f32_f64_e32 v19, v[22:23]
	v_mul_f64 v[22:23], v[26:27], s[0:1]
	v_mul_f64 v[24:25], v[28:29], s[0:1]
	v_fma_f32 v31, v123, v9, -v31
	v_cvt_f64_f32_e32 v[28:29], v30
	s_waitcnt lgkmcnt(0)
	v_mul_f32_e32 v37, v122, v11
	v_mul_f32_e32 v38, v122, v10
	v_fma_f32 v0, v119, v1, -v0
	v_mul_f64 v[8:9], v[32:33], s[0:1]
	v_mul_f64 v[26:27], v[34:35], s[0:1]
	v_cvt_f64_f32_e32 v[30:31], v31
	v_cvt_f64_f32_e32 v[34:35], v36
	v_fmac_f32_e32 v37, v121, v10
	v_fma_f32 v36, v121, v11, -v38
	v_cvt_f64_f32_e32 v[0:1], v0
	v_cvt_f32_f64_e32 v10, v[20:21]
	v_cvt_f32_f64_e32 v11, v[6:7]
	v_cvt_f64_f32_e32 v[6:7], v37
	v_cvt_f64_f32_e32 v[20:21], v36
	v_mul_f32_e32 v38, v118, v3
	v_mul_f32_e32 v39, v118, v2
	v_add_co_u32 v32, vcc_lo, v16, s3
	v_cvt_f32_f64_e32 v22, v[22:23]
	v_cvt_f32_f64_e32 v23, v[24:25]
	v_fmac_f32_e32 v38, v117, v2
	v_mul_f64 v[24:25], v[28:29], s[0:1]
	v_fma_f32 v2, v117, v3, -v39
	v_add_co_ci_u32_e32 v33, vcc_lo, s2, v17, vcc_lo
	v_cvt_f32_f64_e32 v8, v[8:9]
	v_cvt_f32_f64_e32 v9, v[26:27]
	v_mul_f64 v[26:27], v[30:31], s[0:1]
	v_mul_f64 v[30:31], v[34:35], s[0:1]
	v_cvt_f64_f32_e32 v[40:41], v2
	v_add_co_u32 v36, vcc_lo, v32, s4
	v_mul_f64 v[34:35], v[0:1], s[0:1]
	ds_read2_b64 v[0:3], v42 offset0:128 offset1:184
	v_mul_f64 v[6:7], v[6:7], s[0:1]
	v_mul_f64 v[20:21], v[20:21], s[0:1]
	v_add_co_ci_u32_e32 v37, vcc_lo, s5, v33, vcc_lo
	v_add_co_u32 v28, vcc_lo, v36, s3
	v_cvt_f64_f32_e32 v[38:39], v38
	v_add_co_ci_u32_e32 v29, vcc_lo, s2, v37, vcc_lo
	v_add_co_u32 v42, vcc_lo, v28, s4
	v_add_co_ci_u32_e32 v43, vcc_lo, s5, v29, vcc_lo
	global_store_dwordx2 v[16:17], v[14:15], off
	global_store_dwordx2 v[32:33], v[18:19], off
	;; [unrolled: 1-line block ×5, first 2 shown]
	v_cvt_f32_f64_e32 v8, v[24:25]
	v_mul_f32_e32 v22, v116, v13
	v_mul_f32_e32 v24, v109, v5
	;; [unrolled: 1-line block ×3, first 2 shown]
	s_waitcnt lgkmcnt(0)
	v_mul_f32_e32 v23, v111, v1
	v_cvt_f32_f64_e32 v9, v[26:27]
	v_fmac_f32_e32 v22, v115, v12
	v_fmac_f32_e32 v24, v108, v4
	v_fma_f32 v25, v108, v5, -v25
	v_mul_f32_e32 v12, v116, v12
	v_fmac_f32_e32 v23, v110, v0
	v_mul_f32_e32 v0, v111, v0
	v_cvt_f32_f64_e32 v6, v[6:7]
	v_cvt_f32_f64_e32 v7, v[20:21]
	v_cvt_f64_f32_e32 v[20:21], v22
	v_mul_f32_e32 v26, v113, v3
	v_mul_f32_e32 v27, v113, v2
	v_cvt_f64_f32_e32 v[4:5], v24
	v_cvt_f64_f32_e32 v[24:25], v25
	v_cvt_f32_f64_e32 v14, v[30:31]
	v_cvt_f32_f64_e32 v15, v[34:35]
	v_fma_f32 v12, v115, v13, -v12
	v_fma_f32 v0, v110, v1, -v0
	v_fmac_f32_e32 v26, v112, v2
	v_fma_f32 v28, v112, v3, -v27
	v_add_co_u32 v10, vcc_lo, v42, s3
	v_cvt_f64_f32_e32 v[12:13], v12
	v_cvt_f64_f32_e32 v[22:23], v23
	v_cvt_f64_f32_e32 v[0:1], v0
	v_add_co_ci_u32_e32 v11, vcc_lo, s2, v43, vcc_lo
	v_mul_f64 v[16:17], v[38:39], s[0:1]
	v_mul_f64 v[18:19], v[40:41], s[0:1]
	v_cvt_f64_f32_e32 v[26:27], v26
	v_cvt_f64_f32_e32 v[28:29], v28
	v_add_co_u32 v2, vcc_lo, v10, s4
	v_add_co_ci_u32_e32 v3, vcc_lo, s5, v11, vcc_lo
	v_mul_f64 v[20:21], v[20:21], s[0:1]
	v_add_co_u32 v30, vcc_lo, v2, s3
	v_add_co_ci_u32_e32 v31, vcc_lo, s2, v3, vcc_lo
	global_store_dwordx2 v[10:11], v[8:9], off
	global_store_dwordx2 v[2:3], v[14:15], off
	;; [unrolled: 1-line block ×3, first 2 shown]
	v_mul_f64 v[9:10], v[24:25], s[0:1]
	v_mad_u64_u32 v[32:33], null, s8, v159, 0
	v_mul_f64 v[12:13], v[12:13], s[0:1]
	v_mul_f64 v[6:7], v[22:23], s[0:1]
	;; [unrolled: 1-line block ×4, first 2 shown]
	v_cvt_f32_f64_e32 v2, v[16:17]
	v_cvt_f32_f64_e32 v3, v[18:19]
	v_mul_f64 v[16:17], v[26:27], s[0:1]
	v_mul_f64 v[18:19], v[28:29], s[0:1]
	v_mad_u64_u32 v[14:15], null, s8, v161, 0
	v_mov_b32_e32 v8, v33
	v_add_co_u32 v22, vcc_lo, v30, s4
	v_cvt_f32_f64_e32 v11, v[20:21]
	v_add_co_ci_u32_e32 v23, vcc_lo, s5, v31, vcc_lo
	v_add_co_u32 v24, vcc_lo, v22, s3
	v_mad_u64_u32 v[20:21], null, s9, v159, v[8:9]
	v_mov_b32_e32 v8, v15
	v_add_co_ci_u32_e32 v25, vcc_lo, s2, v23, vcc_lo
	v_cvt_f32_f64_e32 v12, v[12:13]
	v_cvt_f32_f64_e32 v6, v[6:7]
	v_mad_u64_u32 v[26:27], null, s9, v161, v[8:9]
	v_cvt_f32_f64_e32 v7, v[0:1]
	v_mov_b32_e32 v33, v20
	v_cvt_f32_f64_e32 v4, v[4:5]
	v_cvt_f32_f64_e32 v5, v[9:10]
	;; [unrolled: 1-line block ×4, first 2 shown]
	v_mad_u64_u32 v[0:1], null, 0x1180, s8, v[24:25]
	v_mov_b32_e32 v15, v26
	global_store_dwordx2 v[22:23], v[2:3], off
	v_lshlrev_b64 v[2:3], 3, v[32:33]
	v_lshlrev_b64 v[13:14], 3, v[14:15]
	v_mad_u64_u32 v[15:16], null, 0x1180, s9, v[1:2]
	v_add_co_u32 v2, vcc_lo, v44, v2
	v_add_co_ci_u32_e32 v3, vcc_lo, v45, v3, vcc_lo
	v_add_co_u32 v13, vcc_lo, v44, v13
	v_add_co_ci_u32_e32 v14, vcc_lo, v45, v14, vcc_lo
	v_mov_b32_e32 v1, v15
	global_store_dwordx2 v[24:25], v[11:12], off
	global_store_dwordx2 v[2:3], v[6:7], off
	;; [unrolled: 1-line block ×4, first 2 shown]
.LBB0_10:
	s_endpgm
	.section	.rodata,"a",@progbits
	.p2align	6, 0x0
	.amdhsa_kernel bluestein_single_fwd_len1008_dim1_sp_op_CI_CI
		.amdhsa_group_segment_fixed_size 8064
		.amdhsa_private_segment_fixed_size 0
		.amdhsa_kernarg_size 104
		.amdhsa_user_sgpr_count 6
		.amdhsa_user_sgpr_private_segment_buffer 1
		.amdhsa_user_sgpr_dispatch_ptr 0
		.amdhsa_user_sgpr_queue_ptr 0
		.amdhsa_user_sgpr_kernarg_segment_ptr 1
		.amdhsa_user_sgpr_dispatch_id 0
		.amdhsa_user_sgpr_flat_scratch_init 0
		.amdhsa_user_sgpr_private_segment_size 0
		.amdhsa_wavefront_size32 1
		.amdhsa_uses_dynamic_stack 0
		.amdhsa_system_sgpr_private_segment_wavefront_offset 0
		.amdhsa_system_sgpr_workgroup_id_x 1
		.amdhsa_system_sgpr_workgroup_id_y 0
		.amdhsa_system_sgpr_workgroup_id_z 0
		.amdhsa_system_sgpr_workgroup_info 0
		.amdhsa_system_vgpr_workitem_id 0
		.amdhsa_next_free_vgpr 237
		.amdhsa_next_free_sgpr 20
		.amdhsa_reserve_vcc 1
		.amdhsa_reserve_flat_scratch 0
		.amdhsa_float_round_mode_32 0
		.amdhsa_float_round_mode_16_64 0
		.amdhsa_float_denorm_mode_32 3
		.amdhsa_float_denorm_mode_16_64 3
		.amdhsa_dx10_clamp 1
		.amdhsa_ieee_mode 1
		.amdhsa_fp16_overflow 0
		.amdhsa_workgroup_processor_mode 1
		.amdhsa_memory_ordered 1
		.amdhsa_forward_progress 0
		.amdhsa_shared_vgpr_count 0
		.amdhsa_exception_fp_ieee_invalid_op 0
		.amdhsa_exception_fp_denorm_src 0
		.amdhsa_exception_fp_ieee_div_zero 0
		.amdhsa_exception_fp_ieee_overflow 0
		.amdhsa_exception_fp_ieee_underflow 0
		.amdhsa_exception_fp_ieee_inexact 0
		.amdhsa_exception_int_div_zero 0
	.end_amdhsa_kernel
	.text
.Lfunc_end0:
	.size	bluestein_single_fwd_len1008_dim1_sp_op_CI_CI, .Lfunc_end0-bluestein_single_fwd_len1008_dim1_sp_op_CI_CI
                                        ; -- End function
	.section	.AMDGPU.csdata,"",@progbits
; Kernel info:
; codeLenInByte = 17720
; NumSgprs: 22
; NumVgprs: 237
; ScratchSize: 0
; MemoryBound: 0
; FloatMode: 240
; IeeeMode: 1
; LDSByteSize: 8064 bytes/workgroup (compile time only)
; SGPRBlocks: 2
; VGPRBlocks: 29
; NumSGPRsForWavesPerEU: 22
; NumVGPRsForWavesPerEU: 237
; Occupancy: 4
; WaveLimiterHint : 1
; COMPUTE_PGM_RSRC2:SCRATCH_EN: 0
; COMPUTE_PGM_RSRC2:USER_SGPR: 6
; COMPUTE_PGM_RSRC2:TRAP_HANDLER: 0
; COMPUTE_PGM_RSRC2:TGID_X_EN: 1
; COMPUTE_PGM_RSRC2:TGID_Y_EN: 0
; COMPUTE_PGM_RSRC2:TGID_Z_EN: 0
; COMPUTE_PGM_RSRC2:TIDIG_COMP_CNT: 0
	.text
	.p2alignl 6, 3214868480
	.fill 48, 4, 3214868480
	.type	__hip_cuid_370f22ee55a333fa,@object ; @__hip_cuid_370f22ee55a333fa
	.section	.bss,"aw",@nobits
	.globl	__hip_cuid_370f22ee55a333fa
__hip_cuid_370f22ee55a333fa:
	.byte	0                               ; 0x0
	.size	__hip_cuid_370f22ee55a333fa, 1

	.ident	"AMD clang version 19.0.0git (https://github.com/RadeonOpenCompute/llvm-project roc-6.4.0 25133 c7fe45cf4b819c5991fe208aaa96edf142730f1d)"
	.section	".note.GNU-stack","",@progbits
	.addrsig
	.addrsig_sym __hip_cuid_370f22ee55a333fa
	.amdgpu_metadata
---
amdhsa.kernels:
  - .args:
      - .actual_access:  read_only
        .address_space:  global
        .offset:         0
        .size:           8
        .value_kind:     global_buffer
      - .actual_access:  read_only
        .address_space:  global
        .offset:         8
        .size:           8
        .value_kind:     global_buffer
      - .actual_access:  read_only
        .address_space:  global
        .offset:         16
        .size:           8
        .value_kind:     global_buffer
      - .actual_access:  read_only
        .address_space:  global
        .offset:         24
        .size:           8
        .value_kind:     global_buffer
      - .actual_access:  read_only
        .address_space:  global
        .offset:         32
        .size:           8
        .value_kind:     global_buffer
      - .offset:         40
        .size:           8
        .value_kind:     by_value
      - .address_space:  global
        .offset:         48
        .size:           8
        .value_kind:     global_buffer
      - .address_space:  global
        .offset:         56
        .size:           8
        .value_kind:     global_buffer
      - .address_space:  global
        .offset:         64
        .size:           8
        .value_kind:     global_buffer
      - .address_space:  global
        .offset:         72
        .size:           8
        .value_kind:     global_buffer
      - .offset:         80
        .size:           4
        .value_kind:     by_value
      - .address_space:  global
        .offset:         88
        .size:           8
        .value_kind:     global_buffer
      - .address_space:  global
        .offset:         96
        .size:           8
        .value_kind:     global_buffer
    .group_segment_fixed_size: 8064
    .kernarg_segment_align: 8
    .kernarg_segment_size: 104
    .language:       OpenCL C
    .language_version:
      - 2
      - 0
    .max_flat_workgroup_size: 56
    .name:           bluestein_single_fwd_len1008_dim1_sp_op_CI_CI
    .private_segment_fixed_size: 0
    .sgpr_count:     22
    .sgpr_spill_count: 0
    .symbol:         bluestein_single_fwd_len1008_dim1_sp_op_CI_CI.kd
    .uniform_work_group_size: 1
    .uses_dynamic_stack: false
    .vgpr_count:     237
    .vgpr_spill_count: 0
    .wavefront_size: 32
    .workgroup_processor_mode: 1
amdhsa.target:   amdgcn-amd-amdhsa--gfx1030
amdhsa.version:
  - 1
  - 2
...

	.end_amdgpu_metadata
